;; amdgpu-corpus repo=ROCm/rocFFT kind=compiled arch=gfx950 opt=O3
	.text
	.amdgcn_target "amdgcn-amd-amdhsa--gfx950"
	.amdhsa_code_object_version 6
	.protected	bluestein_single_back_len480_dim1_sp_op_CI_CI ; -- Begin function bluestein_single_back_len480_dim1_sp_op_CI_CI
	.globl	bluestein_single_back_len480_dim1_sp_op_CI_CI
	.p2align	8
	.type	bluestein_single_back_len480_dim1_sp_op_CI_CI,@function
bluestein_single_back_len480_dim1_sp_op_CI_CI: ; @bluestein_single_back_len480_dim1_sp_op_CI_CI
; %bb.0:
	s_load_dwordx4 s[16:19], s[0:1], 0x28
	v_lshrrev_b32_e32 v23, 4, v0
	v_mov_b32_e32 v109, 0
	v_lshl_or_b32 v8, s2, 2, v23
	v_mov_b32_e32 v9, v109
	s_waitcnt lgkmcnt(0)
	v_cmp_gt_u64_e32 vcc, s[16:17], v[8:9]
	s_and_saveexec_b64 s[2:3], vcc
	s_cbranch_execz .LBB0_10
; %bb.1:
	s_load_dwordx4 s[4:7], s[0:1], 0x18
	s_load_dwordx4 s[8:11], s[0:1], 0x0
	v_and_b32_e32 v153, 15, v0
	v_mov_b32_e32 v2, s18
	v_mov_b32_e32 v3, s19
	s_waitcnt lgkmcnt(0)
	s_load_dwordx4 s[12:15], s[4:5], 0x0
	v_lshlrev_b32_e32 v108, 3, v153
	v_mov_b32_e32 v22, 0x180
	global_load_dwordx2 v[28:29], v108, s[8:9]
	v_accvgpr_write_b32 a62, v8
	s_waitcnt lgkmcnt(0)
	v_mad_u64_u32 v[0:1], s[2:3], s14, v8, 0
	v_mov_b32_e32 v6, v1
	v_mad_u64_u32 v[4:5], s[2:3], s12, v153, 0
	v_mad_u64_u32 v[6:7], s[2:3], s15, v8, v[6:7]
	v_mov_b32_e32 v1, v6
	v_mov_b32_e32 v6, v5
	v_mad_u64_u32 v[6:7], s[2:3], s13, v153, v[6:7]
	v_mov_b32_e32 v5, v6
	v_lshl_add_u64 v[0:1], v[0:1], 3, v[2:3]
	v_lshl_add_u64 v[0:1], v[4:5], 3, v[0:1]
	global_load_dwordx2 v[4:5], v[0:1], off
	v_mad_u64_u32 v[0:1], s[2:3], s12, v22, v[0:1]
	s_mul_i32 s2, s13, 0x180
	s_nop 0
	v_add_u32_e32 v1, s2, v1
	global_load_dwordx2 v[40:41], v108, s[8:9] offset:384
	global_load_dwordx2 v[18:19], v[0:1], off
	v_mad_u64_u32 v[0:1], s[4:5], s12, v22, v[0:1]
	v_add_u32_e32 v1, s2, v1
	global_load_dwordx2 v[34:35], v108, s[8:9] offset:768
	global_load_dwordx2 v[20:21], v[0:1], off
	v_mad_u64_u32 v[0:1], s[4:5], s12, v22, v[0:1]
	;; [unrolled: 4-line block ×3, first 2 shown]
	v_add_u32_e32 v1, s2, v1
	global_load_dwordx2 v[6:7], v[0:1], off
	global_load_dwordx2 v[38:39], v108, s[8:9] offset:1536
	v_mad_u64_u32 v[0:1], s[4:5], s12, v22, v[0:1]
	v_add_u32_e32 v1, s2, v1
	global_load_dwordx2 v[30:31], v108, s[8:9] offset:1920
	global_load_dwordx2 v[12:13], v[0:1], off
	global_load_dwordx2 v[32:33], v108, s[8:9] offset:2304
	v_mad_u64_u32 v[0:1], s[4:5], s12, v22, v[0:1]
	v_add_u32_e32 v1, s2, v1
	v_mad_u64_u32 v[2:3], s[4:5], s12, v22, v[0:1]
	global_load_dwordx2 v[8:9], v[0:1], off
	global_load_dwordx2 v[44:45], v108, s[8:9] offset:2688
	v_add_u32_e32 v3, s2, v3
	global_load_dwordx2 v[0:1], v[2:3], off
	v_mad_u64_u32 v[2:3], s[4:5], s12, v22, v[2:3]
	v_add_u32_e32 v3, s2, v3
	global_load_dwordx2 v[52:53], v108, s[8:9] offset:3072
	global_load_dwordx2 v[48:49], v108, s[8:9] offset:3456
	;; [unrolled: 1-line block ×3, first 2 shown]
	global_load_dwordx2 v[16:17], v[2:3], off
	v_mad_u64_u32 v[2:3], s[4:5], s12, v22, v[2:3]
	v_mov_b32_e32 v43, 0xfffff300
	s_mul_i32 s3, s13, 0xfffff300
	v_add_u32_e32 v3, s2, v3
	global_load_dwordx2 v[14:15], v[2:3], off
	s_sub_i32 s3, s3, s12
	v_mad_u64_u32 v[24:25], s[4:5], s12, v43, v[2:3]
	v_add_u32_e32 v25, s3, v25
	global_load_dwordx2 v[2:3], v[24:25], off
	v_mul_u32_u24_e32 v105, 0x1e0, v23
	v_or_b32_e32 v23, v105, v153
	v_lshlrev_b32_e32 v104, 3, v23
	s_load_dwordx4 s[4:7], s[6:7], 0x0
	global_load_dwordx2 v[50:51], v108, s[8:9] offset:512
	global_load_dwordx2 v[54:55], v108, s[8:9] offset:896
	;; [unrolled: 1-line block ×4, first 2 shown]
	s_load_dwordx2 s[14:15], s[0:1], 0x38
	v_lshl_or_b32 v150, v105, 3, v108
	s_mov_b32 s18, 0x3f4f1bbd
	s_mov_b32 s20, 0xbf167918
	;; [unrolled: 1-line block ×3, first 2 shown]
	v_or_b32_e32 v65, 32, v153
	v_or_b32_e32 v64, 16, v153
	v_accvgpr_write_b32 a63, v105
	v_accvgpr_write_b32 a1, v104
	s_waitcnt vmcnt(25)
	v_accvgpr_write_b32 a2, v28
	v_accvgpr_write_b32 a3, v29
	s_waitcnt vmcnt(24)
	v_mul_f32_e32 v26, v5, v29
	v_mul_f32_e32 v23, v4, v29
	v_fmac_f32_e32 v26, v4, v28
	v_fma_f32 v27, v5, v28, -v23
	ds_write_b64 v104, v[26:27]
	s_waitcnt vmcnt(22)
	v_mul_f32_e32 v26, v19, v41
	v_mul_f32_e32 v4, v18, v41
	v_fmac_f32_e32 v26, v18, v40
	v_fma_f32 v27, v19, v40, -v4
	v_mad_u64_u32 v[18:19], s[0:1], s12, v22, v[24:25]
	s_waitcnt vmcnt(20)
	v_mul_f32_e32 v4, v21, v35
	v_mul_f32_e32 v5, v20, v35
	v_add_u32_e32 v19, s2, v19
	v_fmac_f32_e32 v4, v20, v34
	v_fma_f32 v5, v21, v34, -v5
	global_load_dwordx2 v[20:21], v[18:19], off
	global_load_dwordx2 v[66:67], v108, s[8:9] offset:1280
	global_load_dwordx2 v[62:63], v108, s[8:9] offset:1408
	;; [unrolled: 1-line block ×3, first 2 shown]
	s_waitcnt vmcnt(22)
	v_mul_f32_e32 v24, v11, v37
	v_fmac_f32_e32 v24, v10, v36
	v_mul_f32_e32 v10, v10, v37
	v_fma_f32 v25, v11, v36, -v10
	s_waitcnt vmcnt(20)
	v_mul_f32_e32 v10, v7, v39
	v_fmac_f32_e32 v10, v6, v38
	v_mul_f32_e32 v6, v6, v39
	v_fma_f32 v11, v7, v38, -v6
	s_waitcnt vmcnt(18)
	v_mul_f32_e32 v6, v13, v31
	v_mul_f32_e32 v7, v12, v31
	v_fmac_f32_e32 v6, v12, v30
	v_fma_f32 v7, v13, v30, -v7
	v_mad_u64_u32 v[12:13], s[0:1], s12, v22, v[18:19]
	v_add_u32_e32 v13, s2, v13
	global_load_dwordx2 v[82:83], v108, s[8:9] offset:1664
	global_load_dwordx2 v[68:69], v108, s[8:9] offset:1792
	global_load_dwordx2 v[18:19], v[12:13], off
	global_load_dwordx2 v[88:89], v108, s[8:9] offset:2048
	global_load_dwordx2 v[84:85], v108, s[8:9] offset:2432
	global_load_dwordx2 v[72:73], v108, s[8:9] offset:2176
	s_waitcnt vmcnt(22)
	v_mul_f32_e32 v28, v9, v33
	v_fmac_f32_e32 v28, v8, v32
	v_mul_f32_e32 v8, v8, v33
	v_fma_f32 v29, v9, v32, -v8
	s_waitcnt vmcnt(20)
	v_mul_f32_e32 v8, v1, v45
	v_fmac_f32_e32 v8, v0, v44
	v_mul_f32_e32 v0, v0, v45
	v_fma_f32 v9, v1, v44, -v0
	v_mad_u64_u32 v[0:1], s[0:1], s12, v22, v[12:13]
	v_add_u32_e32 v1, s2, v1
	global_load_dwordx2 v[86:87], v108, s[8:9] offset:2816
	global_load_dwordx2 v[74:75], v108, s[8:9] offset:2944
	;; [unrolled: 1-line block ×3, first 2 shown]
	global_load_dwordx2 v[12:13], v[0:1], off
	global_load_dwordx2 v[90:91], v108, s[8:9] offset:3200
	global_load_dwordx2 v[76:77], v108, s[8:9] offset:3328
	v_mad_u64_u32 v[0:1], s[0:1], s12, v22, v[0:1]
	v_accvgpr_write_b32 a6, v32
	v_add_u32_e32 v1, s2, v1
	v_accvgpr_write_b32 a7, v33
	global_load_dwordx2 v[32:33], v[0:1], off
	v_mad_u64_u32 v[0:1], s[0:1], s12, v22, v[0:1]
	v_accvgpr_write_b32 a8, v34
	v_accvgpr_write_b32 a4, v30
	v_add_u32_e32 v1, s2, v1
	v_accvgpr_write_b32 a9, v35
	v_accvgpr_write_b32 a5, v31
	s_waitcnt vmcnt(23)
	v_mul_f32_e32 v30, v17, v53
	global_load_dwordx2 v[34:35], v[0:1], off
	v_mad_u64_u32 v[0:1], s[0:1], s12, v22, v[0:1]
	v_accvgpr_write_b32 a10, v36
	v_fmac_f32_e32 v30, v16, v52
	v_mul_f32_e32 v16, v16, v53
	v_add_u32_e32 v1, s2, v1
	v_accvgpr_write_b32 a11, v37
	v_fma_f32 v31, v17, v52, -v16
	s_waitcnt vmcnt(23)
	v_mul_f32_e32 v16, v15, v49
	global_load_dwordx2 v[36:37], v[0:1], off
	v_mad_u64_u32 v[0:1], s[0:1], s12, v22, v[0:1]
	v_accvgpr_write_b32 a12, v38
	v_fmac_f32_e32 v16, v14, v48
	v_mul_f32_e32 v14, v14, v49
	v_add_u32_e32 v1, s2, v1
	v_accvgpr_write_b32 a13, v39
	v_fma_f32 v17, v15, v48, -v14
	s_waitcnt vmcnt(23)
	v_mul_f32_e32 v14, v3, v47
	global_load_dwordx2 v[38:39], v[0:1], off
	v_mad_u64_u32 v[0:1], s[0:1], s12, v22, v[0:1]
	v_fmac_f32_e32 v14, v2, v46
	v_mul_f32_e32 v2, v2, v47
	v_add_u32_e32 v1, s2, v1
	v_fma_f32 v15, v3, v46, -v2
	global_load_dwordx2 v[2:3], v[0:1], off
	v_mad_u64_u32 v[0:1], s[0:1], s12, v22, v[0:1]
	v_accvgpr_write_b32 a14, v40
	v_add_u32_e32 v1, s2, v1
	v_accvgpr_write_b32 a15, v41
	global_load_dwordx2 v[40:41], v[0:1], off
	global_load_dwordx2 v[92:93], v108, s[8:9] offset:3584
	v_mad_u64_u32 v[0:1], s[0:1], s12, v43, v[0:1]
	v_accvgpr_write_b32 a16, v44
	v_add_u32_e32 v1, s3, v1
	v_accvgpr_write_b32 a17, v45
	global_load_dwordx2 v[44:45], v[0:1], off
	v_mad_u64_u32 v[0:1], s[0:1], s12, v22, v[0:1]
	v_accvgpr_write_b32 a18, v46
	v_add_u32_e32 v1, s2, v1
	v_accvgpr_write_b32 a19, v47
	s_waitcnt vmcnt(23)
	v_mul_f32_e32 v42, v21, v51
	global_load_dwordx2 v[46:47], v[0:1], off
	v_mad_u64_u32 v[0:1], s[0:1], s12, v22, v[0:1]
	v_fmac_f32_e32 v42, v20, v50
	v_mul_f32_e32 v20, v20, v51
	v_add_u32_e32 v1, s2, v1
	v_fma_f32 v43, v21, v50, -v20
	global_load_dwordx2 v[20:21], v[0:1], off
	v_mad_u64_u32 v[0:1], s[0:1], s12, v22, v[0:1]
	v_add_u32_e32 v1, s2, v1
	ds_write2_b64 v150, v[26:27], v[42:43] offset0:48 offset1:64
	global_load_dwordx2 v[26:27], v[0:1], off
	v_mad_u64_u32 v[0:1], s[0:1], s12, v22, v[0:1]
	v_accvgpr_write_b32 a20, v48
	v_add_u32_e32 v1, s2, v1
	v_accvgpr_write_b32 a21, v49
	global_load_dwordx2 v[48:49], v[0:1], off
	v_mad_u64_u32 v[0:1], s[0:1], s12, v22, v[0:1]
	v_accvgpr_write_b32 a22, v50
	v_add_u32_e32 v1, s2, v1
	v_accvgpr_write_b32 a23, v51
	global_load_dwordx2 v[50:51], v[0:1], off
	v_mad_u64_u32 v[0:1], s[0:1], s12, v22, v[0:1]
	v_accvgpr_write_b32 a28, v52
	v_add_u32_e32 v1, s2, v1
	v_accvgpr_write_b32 a29, v53
	s_waitcnt vmcnt(22)
	v_mul_f32_e32 v42, v19, v55
	global_load_dwordx2 v[52:53], v[0:1], off
	v_mad_u64_u32 v[0:1], s[0:1], s12, v22, v[0:1]
	v_fmac_f32_e32 v42, v18, v54
	v_mul_f32_e32 v18, v18, v55
	v_add_u32_e32 v1, s2, v1
	v_fma_f32 v43, v19, v54, -v18
	global_load_dwordx2 v[18:19], v[0:1], off
	v_mad_u64_u32 v[0:1], s[0:1], s12, v22, v[0:1]
	v_add_u32_e32 v1, s2, v1
	global_load_dwordx2 v[56:57], v[0:1], off
	v_mad_u64_u32 v[0:1], s[0:1], s12, v22, v[0:1]
	v_add_u32_e32 v1, s2, v1
	global_load_dwordx2 v[22:23], v[0:1], off
	global_load_dwordx2 v[80:81], v108, s[8:9] offset:3712
	v_accvgpr_write_b32 a24, v54
	v_accvgpr_write_b32 a25, v55
	s_waitcnt vmcnt(20)
	v_mul_f32_e32 v54, v13, v67
	v_mul_f32_e32 v0, v12, v67
	v_fmac_f32_e32 v54, v12, v66
	v_fma_f32 v55, v13, v66, -v0
	s_waitcnt vmcnt(16)
	v_mul_f32_e32 v12, v35, v89
	v_mul_f32_e32 v13, v34, v89
	ds_write2_b64 v150, v[24:25], v[54:55] offset0:144 offset1:160
	v_fmac_f32_e32 v12, v34, v88
	v_fma_f32 v13, v35, v88, -v13
	v_add_u32_e32 v54, 0x400, v150
	v_accvgpr_write_b32 a46, v66
	ds_write2_b64 v54, v[6:7], v[12:13] offset0:112 offset1:128
	s_waitcnt vmcnt(14)
	v_mul_f32_e32 v12, v39, v87
	v_mul_f32_e32 v13, v38, v87
	v_accvgpr_write_b32 a47, v67
	v_fmac_f32_e32 v12, v38, v86
	v_fma_f32 v13, v39, v86, -v13
	v_add_u32_e32 v66, 0x800, v150
	ds_write2_b64 v66, v[8:9], v[12:13] offset0:80 offset1:96
	s_waitcnt vmcnt(13)
	v_mul_f32_e32 v8, v3, v91
	v_fmac_f32_e32 v8, v2, v90
	v_mul_f32_e32 v2, v2, v91
	v_fma_f32 v9, v3, v90, -v2
	s_waitcnt vmcnt(11)
	v_mul_f32_e32 v2, v41, v93
	v_mul_f32_e32 v3, v40, v93
	v_fmac_f32_e32 v2, v40, v92
	v_fma_f32 v3, v41, v92, -v3
	ds_write2_b64 v66, v[16:17], v[2:3] offset0:176 offset1:192
	s_waitcnt vmcnt(10)
	v_mul_f32_e32 v2, v45, v59
	v_mul_f32_e32 v3, v44, v59
	v_fmac_f32_e32 v2, v44, v58
	v_fma_f32 v3, v45, v58, -v3
	ds_write2_b64 v150, v[14:15], v[2:3] offset0:16 offset1:32
	;; [unrolled: 6-line block ×4, first 2 shown]
	s_waitcnt vmcnt(7)
	v_mul_f32_e32 v2, v27, v63
	v_mul_f32_e32 v3, v26, v63
	v_fmac_f32_e32 v2, v26, v62
	v_fma_f32 v3, v27, v62, -v3
	v_mul_f32_e32 v0, v33, v83
	v_mul_f32_e32 v1, v32, v83
	ds_write2_b64 v150, v[2:3], v[10:11] offset0:176 offset1:192
	s_waitcnt vmcnt(6)
	v_mul_f32_e32 v2, v49, v69
	v_mul_f32_e32 v3, v48, v69
	v_fmac_f32_e32 v0, v32, v82
	v_fma_f32 v1, v33, v82, -v1
	v_fmac_f32_e32 v2, v48, v68
	v_fma_f32 v3, v49, v68, -v3
	ds_write2_b64 v150, v[0:1], v[2:3] offset0:208 offset1:224
	s_waitcnt vmcnt(5)
	v_mul_f32_e32 v0, v51, v73
	v_mul_f32_e32 v1, v50, v73
	v_fmac_f32_e32 v0, v50, v72
	v_fma_f32 v1, v51, v72, -v1
	v_mul_f32_e32 v6, v37, v85
	v_mul_f32_e32 v7, v36, v85
	ds_write2_b64 v66, v[0:1], v[28:29] offset0:16 offset1:32
	s_waitcnt vmcnt(4)
	v_mul_f32_e32 v0, v53, v79
	v_mul_f32_e32 v1, v52, v79
	v_fmac_f32_e32 v6, v36, v84
	v_fma_f32 v7, v37, v84, -v7
	v_fmac_f32_e32 v0, v52, v78
	v_fma_f32 v1, v53, v78, -v1
	ds_write2_b64 v66, v[6:7], v[0:1] offset0:48 offset1:64
	s_waitcnt vmcnt(3)
	v_mul_f32_e32 v0, v19, v75
	v_mul_f32_e32 v1, v18, v75
	v_fmac_f32_e32 v0, v18, v74
	v_fma_f32 v1, v19, v74, -v1
	ds_write2_b64 v66, v[0:1], v[30:31] offset0:112 offset1:128
	s_waitcnt vmcnt(2)
	v_mul_f32_e32 v0, v57, v77
	v_mul_f32_e32 v1, v56, v77
	;; [unrolled: 6-line block ×3, first 2 shown]
	v_fmac_f32_e32 v0, v22, v80
	v_fma_f32 v1, v23, v80, -v1
	ds_write_b64 v150, v[0:1] offset:3712
	s_waitcnt lgkmcnt(0)
	; wave barrier
	s_waitcnt lgkmcnt(0)
	ds_read2_b64 v[16:19], v150 offset0:16 offset1:32
	ds_read2_b64 v[24:27], v150 offset0:208 offset1:224
	;; [unrolled: 1-line block ×5, first 2 shown]
	v_accvgpr_write_b32 a26, v58
	s_waitcnt lgkmcnt(3)
	v_mov_b32_e32 v0, v26
	s_waitcnt lgkmcnt(2)
	v_mov_b32_e32 v1, v23
	v_mov_b32_e32 v2, v22
	;; [unrolled: 1-line block ×3, first 2 shown]
	v_pk_add_f32 v[0:1], v[0:1], v[2:3] neg_lo:[0,1] neg_hi:[0,1]
	s_waitcnt lgkmcnt(1)
	v_mov_b32_e32 v2, v30
	s_waitcnt lgkmcnt(0)
	v_mov_b32_e32 v3, v35
	v_mov_b32_e32 v4, v34
	;; [unrolled: 1-line block ×3, first 2 shown]
	v_pk_add_f32 v[2:3], v[2:3], v[4:5] neg_lo:[0,1] neg_hi:[0,1]
	v_mov_b32_e32 v4, v27
	v_mov_b32_e32 v5, v22
	;; [unrolled: 1-line block ×4, first 2 shown]
	v_pk_add_f32 v[4:5], v[4:5], v[6:7] neg_lo:[0,1] neg_hi:[0,1]
	v_mov_b32_e32 v6, v31
	v_mov_b32_e32 v7, v34
	;; [unrolled: 1-line block ×4, first 2 shown]
	v_accvgpr_write_b32 a27, v59
	v_accvgpr_write_b32 a30, v60
	v_pk_add_f32 v[6:7], v[6:7], v[8:9] neg_lo:[0,1] neg_hi:[0,1]
	v_pk_add_f32 v[58:59], v[0:1], v[2:3]
	v_mul_u32_u24_e32 v0, 10, v153
	v_accvgpr_write_b32 a31, v61
	v_pk_add_f32 v[56:57], v[4:5], v[6:7]
	v_add_lshl_u32 v146, v105, v0, 3
	ds_read2_b64 v[36:39], v150 offset0:48 offset1:64
	ds_read2_b64 v[12:15], v150 offset0:80 offset1:96
	;; [unrolled: 1-line block ×7, first 2 shown]
	ds_read_b64 v[60:61], v104
	ds_read2_b64 v[8:11], v66 offset0:112 offset1:128
	ds_read2_b64 v[52:55], v66 offset0:176 offset1:192
	v_accvgpr_write_b32 a36, v70
	v_accvgpr_write_b32 a34, v68
	;; [unrolled: 1-line block ×8, first 2 shown]
	s_mov_b32 s0, 0x3f737871
	s_waitcnt lgkmcnt(4)
	v_pk_add_f32 v[68:69], v[2:3], v[6:7]
	s_waitcnt lgkmcnt(1)
	v_pk_add_f32 v[70:71], v[14:15], v[10:11] neg_lo:[0,1] neg_hi:[0,1]
	v_accvgpr_write_b32 a39, v73
	v_accvgpr_write_b32 a45, v79
	;; [unrolled: 1-line block ×5, first 2 shown]
	v_pk_fma_f32 v[68:69], v[68:69], 0.5, v[60:61] op_sel_hi:[1,0,1] neg_lo:[1,0,0] neg_hi:[1,0,0]
	v_pk_mul_f32 v[72:73], v[70:71], s[0:1] op_sel_hi:[1,0]
	v_pk_add_f32 v[74:75], v[2:3], v[6:7] neg_lo:[0,1] neg_hi:[0,1]
	s_mov_b32 s12, 0x3f167918
	v_pk_add_f32 v[78:79], v[14:15], v[2:3] neg_lo:[0,1] neg_hi:[0,1]
	v_pk_add_f32 v[80:81], v[10:11], v[6:7] neg_lo:[0,1] neg_hi:[0,1]
	v_accvgpr_write_b32 a50, v82
	v_accvgpr_write_b32 a52, v84
	;; [unrolled: 1-line block ×3, first 2 shown]
	v_pk_mul_f32 v[76:77], v[74:75], s[12:13] op_sel_hi:[1,0]
	v_pk_add_f32 v[78:79], v[78:79], v[80:81]
	v_pk_add_f32 v[80:81], v[68:69], v[72:73] op_sel:[0,1] op_sel_hi:[1,0]
	v_pk_add_f32 v[68:69], v[68:69], v[72:73] op_sel:[0,1] op_sel_hi:[1,0] neg_lo:[0,1] neg_hi:[0,1]
	v_accvgpr_write_b32 a51, v83
	v_accvgpr_write_b32 a53, v85
	;; [unrolled: 1-line block ×5, first 2 shown]
	v_pk_add_f32 v[68:69], v[68:69], v[76:77] op_sel:[0,1] op_sel_hi:[1,0] neg_lo:[0,1] neg_hi:[0,1]
	v_pk_add_f32 v[72:73], v[80:81], v[76:77] op_sel:[0,1] op_sel_hi:[1,0]
	v_pk_add_f32 v[76:77], v[2:3], v[14:15] neg_lo:[0,1] neg_hi:[0,1]
	v_pk_add_f32 v[80:81], v[6:7], v[10:11] neg_lo:[0,1] neg_hi:[0,1]
	v_pk_add_f32 v[82:83], v[44:45], v[48:49] neg_lo:[0,1] neg_hi:[0,1]
	s_waitcnt lgkmcnt(0)
	v_pk_add_f32 v[84:85], v[40:41], v[52:53]
	v_accvgpr_write_b32 a56, v88
	v_accvgpr_write_b32 a55, v87
	;; [unrolled: 1-line block ×4, first 2 shown]
	v_pk_add_f32 v[76:77], v[76:77], v[80:81]
	v_pk_add_f32 v[80:81], v[40:41], v[52:53] neg_lo:[0,1] neg_hi:[0,1]
	v_pk_fma_f32 v[84:85], v[84:85], 0.5, v[36:37] op_sel_hi:[1,0,1] neg_lo:[1,0,0] neg_hi:[1,0,0]
	v_pk_mul_f32 v[86:87], v[82:83], s[0:1] op_sel_hi:[1,0]
	v_pk_add_f32 v[90:91], v[44:45], v[40:41] neg_lo:[0,1] neg_hi:[0,1]
	v_pk_add_f32 v[92:93], v[48:49], v[52:53] neg_lo:[0,1] neg_hi:[0,1]
	v_accvgpr_write_b32 a57, v89
	v_pk_mul_f32 v[88:89], v[80:81], s[12:13] op_sel_hi:[1,0]
	v_pk_add_f32 v[90:91], v[90:91], v[92:93]
	v_pk_add_f32 v[92:93], v[84:85], v[86:87] op_sel:[0,1] op_sel_hi:[1,0] neg_lo:[0,1] neg_hi:[0,1]
	v_pk_add_f32 v[84:85], v[84:85], v[86:87] op_sel:[0,1] op_sel_hi:[1,0]
	v_pk_add_f32 v[86:87], v[92:93], v[88:89] op_sel:[0,1] op_sel_hi:[1,0]
	v_pk_add_f32 v[84:85], v[84:85], v[88:89] op_sel:[0,1] op_sel_hi:[1,0] neg_lo:[0,1] neg_hi:[0,1]
	s_mov_b32 s2, 0x3e9e377a
	v_mov_b32_e32 v88, v86
	v_mov_b32_e32 v89, v85
	v_pk_fma_f32 v[88:89], v[90:91], s[2:3], v[88:89] op_sel_hi:[1,0,1]
	v_pk_mul_f32 v[74:75], v[74:75], s[0:1] op_sel_hi:[1,0]
	v_pk_mul_f32 v[92:93], v[88:89], s[0:1] op_sel_hi:[1,0]
	;; [unrolled: 1-line block ×3, first 2 shown]
	v_pk_fma_f32 v[94:95], v[88:89], s[2:3], v[92:93] op_sel:[0,0,1] op_sel_hi:[1,0,0]
	v_pk_fma_f32 v[88:89], v[88:89], s[2:3], v[92:93] op_sel:[0,0,1] op_sel_hi:[1,0,0] neg_lo:[0,0,1] neg_hi:[0,0,1]
	v_pk_add_f32 v[92:93], v[14:15], v[10:11]
	v_mov_b32_e32 v95, v89
	v_pk_fma_f32 v[92:93], v[92:93], 0.5, v[60:61] op_sel_hi:[1,0,1] neg_lo:[1,0,0] neg_hi:[1,0,0]
	v_mov_b32_e32 v85, v87
	v_pk_add_f32 v[88:89], v[92:93], v[74:75] op_sel:[0,1] op_sel_hi:[1,0] neg_lo:[0,1] neg_hi:[0,1]
	v_pk_add_f32 v[74:75], v[92:93], v[74:75] op_sel:[0,1] op_sel_hi:[1,0]
	v_pk_add_f32 v[92:93], v[36:37], v[40:41]
	v_pk_add_f32 v[74:75], v[74:75], v[70:71] op_sel:[0,1] op_sel_hi:[1,0] neg_lo:[0,1] neg_hi:[0,1]
	v_pk_add_f32 v[70:71], v[88:89], v[70:71] op_sel:[0,1] op_sel_hi:[1,0]
	v_mov_b32_e32 v87, v75
	v_mov_b32_e32 v75, v71
	v_pk_add_f32 v[92:93], v[92:93], v[44:45]
	v_mov_b32_e32 v86, v70
	v_pk_fma_f32 v[70:71], v[76:77], s[2:3], v[74:75] op_sel_hi:[1,0,1]
	v_pk_add_f32 v[74:75], v[44:45], v[48:49]
	v_pk_add_f32 v[92:93], v[92:93], v[48:49]
	v_mov_b32_e32 v89, v69
	v_pk_fma_f32 v[36:37], v[74:75], 0.5, v[36:37] op_sel_hi:[1,0,1] neg_lo:[1,0,0] neg_hi:[1,0,0]
	v_pk_add_f32 v[40:41], v[40:41], v[44:45] neg_lo:[0,1] neg_hi:[0,1]
	v_pk_add_f32 v[44:45], v[52:53], v[48:49] neg_lo:[0,1] neg_hi:[0,1]
	v_mov_b32_e32 v69, v73
	v_pk_mul_f32 v[48:49], v[80:81], s[0:1] op_sel_hi:[1,0]
	v_pk_add_f32 v[92:93], v[92:93], v[52:53]
	v_pk_add_f32 v[40:41], v[40:41], v[44:45]
	v_pk_fma_f32 v[44:45], v[78:79], s[2:3], v[68:69] op_sel_hi:[1,0,1]
	v_pk_add_f32 v[52:53], v[36:37], v[48:49] op_sel:[0,1] op_sel_hi:[1,0]
	v_pk_mul_f32 v[68:69], v[82:83], s[12:13] op_sel_hi:[1,0]
	v_pk_add_f32 v[36:37], v[36:37], v[48:49] op_sel:[0,1] op_sel_hi:[1,0] neg_lo:[0,1] neg_hi:[0,1]
	v_pk_add_f32 v[52:53], v[68:69], v[52:53] op_sel:[1,0] op_sel_hi:[0,1]
	v_pk_add_f32 v[36:37], v[36:37], v[68:69] op_sel:[0,1] op_sel_hi:[1,0] neg_lo:[0,1] neg_hi:[0,1]
	v_mov_b32_e32 v88, v72
	v_pk_fma_f32 v[48:49], v[40:41], s[2:3], v[36:37] op_sel_hi:[1,0,1]
	v_mov_b32_e32 v37, v53
	v_pk_fma_f32 v[36:37], v[40:41], s[2:3], v[36:37] op_sel_hi:[1,0,1]
	v_pk_fma_f32 v[72:73], v[40:41], s[2:3], v[52:53] op_sel_hi:[1,0,1]
	s_mov_b32 s21, s12
	v_pk_mul_f32 v[40:41], v[36:37], s[18:19] op_sel_hi:[1,0]
	s_mov_b32 s19, s12
	v_pk_fma_f32 v[36:37], v[36:37], s[20:21], v[40:41] op_sel:[0,0,1] op_sel_hi:[1,1,0] neg_lo:[0,0,1] neg_hi:[0,0,1]
	v_pk_mul_f32 v[40:41], v[72:73], s[18:19] op_sel_hi:[0,1]
	s_mov_b32 s13, s18
	v_pk_fma_f32 v[84:85], v[90:91], s[2:3], v[84:85] op_sel_hi:[1,0,1]
	v_pk_fma_f32 v[52:53], v[48:49], s[12:13], v[40:41] op_sel:[1,0,0]
	v_pk_fma_f32 v[40:41], v[48:49], s[12:13], v[40:41] op_sel:[1,0,0] neg_lo:[0,0,1] neg_hi:[0,0,1]
	v_pk_add_f32 v[48:49], v[44:45], v[36:37] op_sel:[1,0] op_sel_hi:[0,1]
	v_pk_add_f32 v[68:69], v[44:45], v[36:37] op_sel:[1,0] op_sel_hi:[0,1] neg_lo:[0,1] neg_hi:[0,1]
	v_pk_add_f32 v[36:37], v[38:39], v[42:43]
	s_mov_b32 s17, s0
	v_pk_mul_f32 v[90:91], v[84:85], s[2:3] op_sel_hi:[1,0]
	v_pk_add_f32 v[36:37], v[36:37], v[46:47]
	v_pk_fma_f32 v[86:87], v[76:77], s[2:3], v[86:87] op_sel_hi:[1,0,1]
	v_pk_fma_f32 v[84:85], v[84:85], s[16:17], v[90:91] op_sel:[0,0,1] op_sel_hi:[1,1,0] neg_lo:[0,0,1] neg_hi:[0,0,1]
	v_pk_add_f32 v[36:37], v[36:37], v[50:51]
	v_pk_add_f32 v[14:15], v[60:61], v[14:15]
	v_accvgpr_write_b32 a32, v62
	v_pk_fma_f32 v[88:89], v[78:79], s[2:3], v[88:89] op_sel_hi:[1,0,1]
	v_mov_b32_e32 v53, v41
	v_pk_add_f32 v[44:45], v[42:43], v[54:55] neg_lo:[0,1] neg_hi:[0,1]
	v_pk_add_f32 v[72:73], v[46:47], v[50:51] neg_lo:[0,1] neg_hi:[0,1]
	v_pk_add_f32 v[74:75], v[42:43], v[54:55]
	v_pk_add_f32 v[76:77], v[46:47], v[42:43] neg_lo:[0,1] neg_hi:[0,1]
	v_pk_add_f32 v[78:79], v[42:43], v[46:47] neg_lo:[0,1] neg_hi:[0,1]
	;; [unrolled: 1-line block ×3, first 2 shown]
	v_pk_add_f32 v[46:47], v[46:47], v[50:51]
	v_pk_add_f32 v[50:51], v[54:55], v[50:51] neg_lo:[0,1] neg_hi:[0,1]
	v_pk_add_f32 v[40:41], v[86:87], v[94:95]
	v_pk_add_f32 v[42:43], v[70:71], v[84:85] op_sel:[0,1] op_sel_hi:[1,0]
	v_pk_add_f32 v[54:55], v[36:37], v[54:55]
	v_pk_add_f32 v[36:37], v[24:25], v[28:29]
	v_pk_add_f32 v[82:83], v[20:21], v[32:33] neg_lo:[0,1] neg_hi:[0,1]
	v_pk_add_f32 v[2:3], v[14:15], v[2:3]
	v_accvgpr_write_b32 a33, v63
	ds_read_b64 v[62:63], v150 offset:3712
	v_pk_fma_f32 v[36:37], v[36:37], 0.5, v[16:17] op_sel_hi:[1,0,1] neg_lo:[1,0,0] neg_hi:[1,0,0]
	v_pk_fma_f32 v[74:75], v[74:75], 0.5, v[38:39] op_sel_hi:[1,0,1] neg_lo:[1,0,0] neg_hi:[1,0,0]
	;; [unrolled: 1-line block ×3, first 2 shown]
	v_pk_mul_f32 v[38:39], v[82:83], s[0:1] op_sel_hi:[1,0]
	v_pk_add_f32 v[90:91], v[24:25], v[28:29] neg_lo:[0,1] neg_hi:[0,1]
	s_waitcnt lgkmcnt(0)
	; wave barrier
	s_waitcnt lgkmcnt(0)
	ds_write_b128 v146, v[40:43] offset:16
	v_pk_add_f32 v[40:41], v[20:21], v[24:25] neg_lo:[0,1] neg_hi:[0,1]
	v_pk_add_f32 v[42:43], v[32:33], v[28:29] neg_lo:[0,1] neg_hi:[0,1]
	v_pk_add_f32 v[2:3], v[2:3], v[6:7]
	v_pk_add_f32 v[96:97], v[40:41], v[42:43]
	v_pk_add_f32 v[40:41], v[36:37], v[38:39] op_sel:[0,1] op_sel_hi:[1,0]
	v_pk_add_f32 v[36:37], v[36:37], v[38:39] op_sel:[0,1] op_sel_hi:[1,0] neg_lo:[0,1] neg_hi:[0,1]
	v_pk_mul_f32 v[38:39], v[90:91], s[12:13] op_sel_hi:[1,0]
	v_pk_add_f32 v[2:3], v[2:3], v[10:11]
	v_pk_add_f32 v[6:7], v[24:25], v[20:21] neg_lo:[0,1] neg_hi:[0,1]
	v_pk_add_f32 v[10:11], v[28:29], v[32:33] neg_lo:[0,1] neg_hi:[0,1]
	v_pk_add_f32 v[100:101], v[40:41], v[38:39] op_sel:[0,1] op_sel_hi:[1,0]
	v_pk_add_f32 v[42:43], v[88:89], v[52:53]
	v_pk_add_f32 v[40:41], v[2:3], v[92:93]
	;; [unrolled: 1-line block ×3, first 2 shown]
	v_pk_mul_f32 v[10:11], v[72:73], s[0:1] op_sel_hi:[1,0]
	v_pk_add_f32 v[98:99], v[36:37], v[38:39] op_sel:[0,1] op_sel_hi:[1,0] neg_lo:[0,1] neg_hi:[0,1]
	v_pk_add_f32 v[36:37], v[26:27], v[30:31]
	ds_write_b128 v146, v[40:43]
	v_pk_add_f32 v[40:41], v[74:75], v[10:11] op_sel:[0,1] op_sel_hi:[1,0] neg_lo:[0,1] neg_hi:[0,1]
	v_pk_add_f32 v[10:11], v[74:75], v[10:11] op_sel:[0,1] op_sel_hi:[1,0]
	v_pk_mul_f32 v[42:43], v[44:45], s[12:13] op_sel_hi:[1,0]
	v_pk_fma_f32 v[102:103], v[36:37], 0.5, v[18:19] op_sel_hi:[1,0,1] neg_lo:[1,0,0] neg_hi:[1,0,0]
	v_pk_add_f32 v[36:37], v[88:89], v[52:53] neg_lo:[0,1] neg_hi:[0,1]
	v_pk_add_f32 v[10:11], v[10:11], v[42:43] op_sel:[0,1] op_sel_hi:[1,0] neg_lo:[0,1] neg_hi:[0,1]
	v_pk_add_f32 v[52:53], v[40:41], v[42:43] op_sel:[0,1] op_sel_hi:[1,0]
	v_pk_add_f32 v[14:15], v[76:77], v[80:81]
	v_pk_add_f32 v[42:43], v[2:3], v[92:93] neg_lo:[0,1] neg_hi:[0,1]
	v_mov_b32_e32 v2, v52
	v_mov_b32_e32 v3, v11
	;; [unrolled: 1-line block ×4, first 2 shown]
	v_pk_fma_f32 v[2:3], v[14:15], s[2:3], v[2:3] op_sel_hi:[1,0,1]
	ds_write_b128 v146, v[40:43] offset:32
	v_pk_mul_f32 v[40:41], v[2:3], s[0:1] op_sel_hi:[1,0]
	v_mov_b32_e32 v11, v53
	v_pk_fma_f32 v[48:49], v[2:3], s[2:3], v[40:41] op_sel:[0,0,1] op_sel_hi:[1,0,0]
	v_pk_fma_f32 v[2:3], v[2:3], s[2:3], v[40:41] op_sel:[0,0,1] op_sel_hi:[1,0,0] neg_lo:[0,0,1] neg_hi:[0,0,1]
	v_pk_add_f32 v[40:41], v[20:21], v[32:33]
	v_mov_b32_e32 v49, v3
	v_pk_fma_f32 v[40:41], v[40:41], 0.5, v[16:17] op_sel_hi:[1,0,1] neg_lo:[1,0,0] neg_hi:[1,0,0]
	v_pk_mul_f32 v[2:3], v[90:91], s[0:1] op_sel_hi:[1,0]
	v_pk_mul_f32 v[72:73], v[72:73], s[12:13] op_sel_hi:[1,0]
	v_pk_add_f32 v[42:43], v[40:41], v[2:3] op_sel:[0,1] op_sel_hi:[1,0] neg_lo:[0,1] neg_hi:[0,1]
	v_pk_add_f32 v[2:3], v[40:41], v[2:3] op_sel:[0,1] op_sel_hi:[1,0]
	v_pk_mul_f32 v[40:41], v[82:83], s[12:13] op_sel_hi:[1,0]
	v_pk_fma_f32 v[10:11], v[14:15], s[2:3], v[10:11] op_sel_hi:[1,0,1]
	v_pk_add_f32 v[2:3], v[2:3], v[40:41] op_sel:[0,1] op_sel_hi:[1,0] neg_lo:[0,1] neg_hi:[0,1]
	v_pk_add_f32 v[40:41], v[42:43], v[40:41] op_sel:[0,1] op_sel_hi:[1,0]
	v_pk_mul_f32 v[42:43], v[44:45], s[0:1] op_sel_hi:[1,0]
	v_pk_add_f32 v[50:51], v[78:79], v[50:51]
	v_pk_add_f32 v[44:45], v[46:47], v[42:43] op_sel:[0,1] op_sel_hi:[1,0]
	v_pk_add_f32 v[42:43], v[46:47], v[42:43] op_sel:[0,1] op_sel_hi:[1,0] neg_lo:[0,1] neg_hi:[0,1]
	v_pk_add_f32 v[44:45], v[72:73], v[44:45] op_sel:[1,0] op_sel_hi:[0,1]
	v_pk_add_f32 v[16:17], v[16:17], v[20:21]
	v_pk_mul_f32 v[14:15], v[10:11], s[2:3] op_sel_hi:[1,0]
	v_pk_fma_f32 v[46:47], v[50:51], s[2:3], v[44:45] op_sel_hi:[1,0,1]
	v_pk_add_f32 v[72:73], v[42:43], v[72:73] op_sel:[0,1] op_sel_hi:[1,0] neg_lo:[0,1] neg_hi:[0,1]
	v_pk_add_f32 v[16:17], v[16:17], v[24:25]
	v_pk_fma_f32 v[10:11], v[10:11], s[16:17], v[14:15] op_sel:[0,0,1] op_sel_hi:[1,1,0] neg_lo:[0,0,1] neg_hi:[0,0,1]
	v_mov_b32_e32 v14, v40
	v_mov_b32_e32 v15, v3
	v_pk_fma_f32 v[42:43], v[50:51], s[2:3], v[72:73] op_sel_hi:[1,0,1]
	v_mov_b32_e32 v73, v45
	v_pk_mul_f32 v[44:45], v[46:47], s[18:19] op_sel_hi:[0,1]
	v_pk_add_f32 v[16:17], v[16:17], v[28:29]
	v_pk_add_f32 v[38:39], v[86:87], v[94:95] neg_lo:[0,1] neg_hi:[0,1]
	v_mov_b32_e32 v3, v41
	v_pk_fma_f32 v[52:53], v[6:7], s[2:3], v[14:15] op_sel_hi:[1,0,1]
	v_mov_b32_e32 v40, v100
	v_mov_b32_e32 v41, v99
	v_pk_fma_f32 v[46:47], v[42:43], s[12:13], v[44:45] op_sel:[1,0,0]
	v_pk_fma_f32 v[42:43], v[42:43], s[12:13], v[44:45] op_sel:[1,0,0] neg_lo:[0,0,1] neg_hi:[0,0,1]
	v_pk_add_f32 v[16:17], v[16:17], v[32:33]
	v_pk_fma_f32 v[2:3], v[6:7], s[2:3], v[2:3] op_sel_hi:[1,0,1]
	v_pk_add_f32 v[14:15], v[70:71], v[84:85] op_sel:[0,1] op_sel_hi:[1,0] neg_lo:[0,1] neg_hi:[0,1]
	v_pk_fma_f32 v[40:41], v[96:97], s[2:3], v[40:41] op_sel_hi:[1,0,1]
	v_mov_b32_e32 v47, v43
	ds_write_b128 v146, v[36:39] offset:48
	v_pk_add_f32 v[36:37], v[16:17], v[54:55]
	v_pk_add_f32 v[42:43], v[52:53], v[48:49] neg_lo:[0,1] neg_hi:[0,1]
	v_pk_add_f32 v[44:45], v[52:53], v[48:49]
	v_pk_fma_f32 v[20:21], v[50:51], s[2:3], v[72:73] op_sel_hi:[1,0,1]
	v_pk_add_f32 v[48:49], v[16:17], v[54:55] neg_lo:[0,1] neg_hi:[0,1]
	v_mov_b32_e32 v16, v69
	v_mov_b32_e32 v17, v68
	;; [unrolled: 1-line block ×3, first 2 shown]
	v_pk_add_f32 v[38:39], v[40:41], v[46:47]
	v_pk_add_f32 v[40:41], v[40:41], v[46:47] neg_lo:[0,1] neg_hi:[0,1]
	v_pk_add_f32 v[46:47], v[2:3], v[10:11] op_sel:[0,1] op_sel_hi:[1,0]
	v_pk_mul_f32 v[24:25], v[20:21], s[18:19] op_sel_hi:[1,0]
	v_pk_add_f32 v[50:51], v[2:3], v[10:11] op_sel:[0,1] op_sel_hi:[1,0] neg_lo:[0,1] neg_hi:[0,1]
	v_mul_u32_u24_e32 v2, 10, v65
	ds_write_b128 v146, v[14:17] offset:64
	v_mov_b32_e32 v14, v0
	v_mov_b32_e32 v15, v62
	;; [unrolled: 1-line block ×4, first 2 shown]
	v_pk_fma_f32 v[70:71], v[96:97], s[2:3], v[98:99] op_sel_hi:[1,0,1]
	v_pk_fma_f32 v[20:21], v[20:21], s[20:21], v[24:25] op_sel:[0,0,1] op_sel_hi:[1,1,0] neg_lo:[0,0,1] neg_hi:[0,0,1]
	v_add_lshl_u32 v147, v105, v2, 3
	v_pk_add_f32 v[2:3], v[4:5], v[8:9]
	v_pk_add_f32 v[14:15], v[14:15], v[16:17] neg_lo:[0,1] neg_hi:[0,1]
	v_pk_add_f32 v[24:25], v[70:71], v[20:21] op_sel:[1,0] op_sel_hi:[0,1]
	v_pk_add_f32 v[10:11], v[70:71], v[20:21] op_sel:[1,0] op_sel_hi:[0,1] neg_lo:[0,1] neg_hi:[0,1]
	v_fma_f32 v21, -0.5, v2, v12
	v_mov_b32_e32 v2, v15
	v_pk_add_f32 v[14:15], v[14:15], v[2:3]
	v_fma_f32 v54, -0.5, v3, v13
	v_mov_b32_e32 v2, v1
	v_mov_b32_e32 v3, v63
	;; [unrolled: 1-line block ×4, first 2 shown]
	v_pk_add_f32 v[2:3], v[2:3], v[28:29] neg_lo:[0,1] neg_hi:[0,1]
	v_pk_mul_f32 v[6:7], v[58:59], s[2:3] op_sel_hi:[1,0]
	v_mov_b32_e32 v20, v3
	v_mov_b32_e32 v79, v7
	v_mul_u32_u24_e32 v7, 10, v64
	v_pk_add_f32 v[28:29], v[2:3], v[20:21]
	v_pk_add_f32 v[2:3], v[18:19], v[22:23]
	v_pk_add_f32 v[60:61], v[22:23], v[34:35] neg_lo:[0,1] neg_hi:[0,1]
	v_add_lshl_u32 v148, v105, v7, 3
	v_pk_add_f32 v[2:3], v[2:3], v[26:27]
	v_mov_b32_e32 v52, v11
	v_mov_b32_e32 v53, v10
	v_pk_add_f32 v[10:11], v[26:27], v[30:31] neg_lo:[0,1] neg_hi:[0,1]
	v_pk_add_f32 v[2:3], v[2:3], v[30:31]
	ds_write_b128 v148, v[36:39]
	v_pk_add_f32 v[22:23], v[22:23], v[34:35]
	v_mov_b32_e32 v30, v60
	v_mov_b32_e32 v31, v11
	v_mov_b32_e32 v36, v61
	v_mov_b32_e32 v37, v10
	v_pk_mul_f32 v[74:75], v[60:61], s[0:1] op_sel_hi:[1,0]
	v_pk_add_f32 v[32:33], v[2:3], v[34:35]
	v_pk_fma_f32 v[18:19], v[22:23], 0.5, v[18:19] op_sel_hi:[1,0,1] neg_lo:[1,0,0] neg_hi:[1,0,0]
	v_pk_mul_f32 v[22:23], v[10:11], s[0:1] op_sel_hi:[1,0]
	v_pk_mul_f32 v[34:35], v[30:31], s[12:13] op_sel_hi:[1,0]
	;; [unrolled: 1-line block ×3, first 2 shown]
	v_pk_add_f32 v[76:77], v[102:103], v[74:75] op_sel:[0,1] op_sel_hi:[1,0]
	v_pk_add_f32 v[80:81], v[102:103], v[74:75] op_sel:[0,1] op_sel_hi:[1,0] neg_lo:[0,1] neg_hi:[0,1]
	ds_write_b128 v148, v[44:47] offset:16
	v_mov_b32_e32 v46, v25
	v_mov_b32_e32 v47, v24
	v_pk_add_f32 v[24:25], v[18:19], v[22:23] op_sel:[0,1] op_sel_hi:[1,0] neg_lo:[0,1] neg_hi:[0,1]
	v_pk_add_f32 v[26:27], v[18:19], v[22:23] op_sel:[0,1] op_sel_hi:[1,0]
	v_mov_b32_e32 v20, v35
	v_mov_b32_e32 v11, v34
	ds_write_b128 v148, v[46:49] offset:32
	ds_write_b128 v148, v[40:43] offset:48
	v_pk_add_f32 v[38:39], v[76:77], v[20:21]
	v_pk_fma_f32 v[40:41], v[36:37], s[12:13], v[80:81] op_sel_hi:[1,0,1] neg_lo:[1,0,0] neg_hi:[1,0,0]
	v_pk_fma_f32 v[24:25], v[36:37], s[12:13], v[24:25] op_sel_hi:[1,0,1]
	v_pk_add_f32 v[10:11], v[26:27], v[10:11] neg_lo:[0,1] neg_hi:[0,1]
	v_mov_b32_e32 v39, v41
	v_mov_b32_e32 v40, v23
	;; [unrolled: 1-line block ×9, first 2 shown]
	v_pk_mul_f32 v[82:83], v[56:57], s[2:3] op_sel_hi:[1,0]
	v_pk_add_f32 v[40:41], v[40:41], v[42:43]
	v_pk_add_f32 v[10:11], v[10:11], v[22:23] neg_lo:[0,1] neg_hi:[0,1]
	v_pk_fma_f32 v[42:43], v[36:37], s[12:13], v[40:41] op_sel_hi:[1,0,1] neg_lo:[1,0,0] neg_hi:[1,0,0]
	v_pk_fma_f32 v[40:41], v[36:37], s[12:13], v[40:41] op_sel_hi:[1,0,1]
	v_mov_b32_e32 v7, v82
	v_pk_fma_f32 v[18:19], v[30:31], s[12:13], v[10:11] op_sel_hi:[1,0,1]
	v_pk_fma_f32 v[10:11], v[30:31], s[12:13], v[10:11] op_sel_hi:[1,0,1] neg_lo:[1,0,0] neg_hi:[1,0,0]
	v_mov_b32_e32 v43, v41
	v_pk_add_f32 v[6:7], v[6:7], v[24:25]
	v_mov_b32_e32 v19, v11
	v_pk_add_f32 v[24:25], v[4:5], v[8:9] neg_lo:[0,1] neg_hi:[0,1]
	v_pk_fma_f32 v[40:41], v[58:59], s[2:3], v[42:43] op_sel_hi:[1,0,1]
	v_pk_fma_f32 v[10:11], v[56:57], s[2:3], v[18:19] op_sel_hi:[1,0,1]
	v_pk_add_f32 v[22:23], v[0:1], v[62:63] neg_lo:[0,1] neg_hi:[0,1]
	v_mov_b32_e32 v15, v25
	s_mov_b32 s3, s12
	v_fmamk_f32 v20, v23, 0x3f737871, v21
	v_pk_mul_f32 v[26:27], v[14:15], s[2:3]
	v_pk_add_f32 v[34:35], v[0:1], v[62:63]
	v_add_f32_e32 v20, v27, v20
	v_mov_b32_e32 v29, v24
	v_pk_add_f32 v[16:17], v[12:13], v[0:1]
	v_add_f32_e32 v30, v26, v20
	v_pk_fma_f32 v[12:13], v[34:35], 0.5, v[12:13] op_sel_hi:[1,0,1] neg_lo:[1,0,0] neg_hi:[1,0,0]
	v_pk_mul_f32 v[34:35], v[24:25], s[0:1] op_sel_hi:[1,0]
	v_fmamk_f32 v20, v22, 0xbf737871, v54
	v_pk_mul_f32 v[24:25], v[28:29], s[2:3]
	v_mul_f32_e32 v31, 0x3f737871, v23
	v_pk_add_f32 v[36:37], v[34:35], v[12:13] op_sel:[1,0] op_sel_hi:[0,1]
	v_pk_mul_f32 v[42:43], v[22:23], s[12:13] op_sel_hi:[1,0]
	v_sub_f32_e32 v20, v20, v25
	v_pk_add_f32 v[44:45], v[12:13], v[34:35] op_sel:[0,1] op_sel_hi:[1,0] neg_lo:[0,1] neg_hi:[0,1]
	v_pk_add_f32 v[16:17], v[16:17], v[4:5]
	v_pk_add_f32 v[36:37], v[36:37], v[42:43] op_sel:[0,1] op_sel_hi:[1,0] neg_lo:[0,1] neg_hi:[0,1]
	v_add_f32_e32 v28, v24, v20
	v_pk_add_f32 v[42:43], v[44:45], v[42:43] op_sel:[0,1] op_sel_hi:[1,0]
	v_pk_add_f32 v[0:1], v[4:5], v[0:1] neg_lo:[0,1] neg_hi:[0,1]
	v_pk_add_f32 v[4:5], v[8:9], v[62:63] neg_lo:[0,1] neg_hi:[0,1]
	v_mov_b32_e32 v20, v13
	v_mov_b32_e32 v35, v31
	v_pk_add_f32 v[16:17], v[16:17], v[8:9]
	v_mov_b32_e32 v43, v37
	v_pk_add_f32 v[0:1], v[0:1], v[4:5]
	v_pk_add_f32 v[8:9], v[20:21], v[34:35] neg_lo:[0,1] neg_hi:[0,1]
	v_fmac_f32_e32 v54, 0x3f737871, v22
	v_pk_mul_f32 v[4:5], v[0:1], s[2:3] op_sel_hi:[1,0]
	v_pk_fma_f32 v[0:1], v[0:1], s[2:3], v[42:43] op_sel_hi:[1,0,1]
	v_pk_fma_f32 v[12:13], v[22:23], s[12:13], v[8:9] op_sel_hi:[1,0,1]
	v_pk_fma_f32 v[8:9], v[14:15], s[2:3], v[8:9] neg_lo:[1,0,0] neg_hi:[1,0,0]
	v_add_f32_e32 v25, v25, v54
	v_mov_b32_e32 v13, v9
	v_pk_mul_f32 v[8:9], v[0:1], s[0:1] op_sel_hi:[1,0]
	v_mov_b32_e32 v37, v25
	v_pk_fma_f32 v[14:15], v[0:1], s[2:3], v[8:9] op_sel:[0,0,1] op_sel_hi:[1,0,0]
	v_pk_fma_f32 v[8:9], v[0:1], s[2:3], v[8:9] op_sel:[0,0,1] op_sel_hi:[1,0,0] neg_lo:[0,0,1] neg_hi:[0,0,1]
	v_mov_b32_e32 v0, v4
	v_mov_b32_e32 v1, v24
	v_pk_add_f32 v[0:1], v[0:1], v[36:37]
	v_mov_b32_e32 v4, v5
	v_mov_b32_e32 v5, v26
	s_mov_b32 s3, s18
	v_pk_add_f32 v[4:5], v[4:5], v[12:13]
	s_mov_b32 s1, s20
	v_pk_mul_f32 v[12:13], v[0:1], s[2:3]
	s_mov_b32 s17, s12
	v_pk_fma_f32 v[12:13], v[4:5], s[0:1], v[12:13] neg_lo:[0,0,1] neg_hi:[0,0,1]
	v_pk_mul_f32 v[4:5], v[4:5], s[2:3]
	v_mov_b32_e32 v78, v83
	v_pk_fma_f32 v[20:21], v[0:1], s[16:17], v[4:5] neg_lo:[0,0,1] neg_hi:[0,0,1]
	v_pk_mul_f32 v[0:1], v[30:31], s[18:19] op_sel_hi:[0,1]
	v_pk_add_f32 v[16:17], v[16:17], v[62:63]
	v_mov_b32_e32 v18, v11
	v_mov_b32_e32 v19, v41
	;; [unrolled: 1-line block ×5, first 2 shown]
	v_pk_fma_f32 v[22:23], v[28:29], s[12:13], v[0:1]
	v_pk_fma_f32 v[0:1], v[28:29], s[12:13], v[0:1] op_sel_hi:[0,1,1] neg_lo:[0,0,1] neg_hi:[0,0,1]
	v_pk_add_f32 v[38:39], v[78:79], v[38:39]
	v_mov_b32_e32 v23, v1
	v_pk_add_f32 v[0:1], v[6:7], v[14:15]
	v_pk_add_f32 v[92:93], v[18:19], v[4:5]
	v_mov_b32_e32 v4, v6
	v_mov_b32_e32 v5, v32
	;; [unrolled: 1-line block ×3, first 2 shown]
	v_pk_add_f32 v[2:3], v[32:33], v[16:17]
	v_pk_add_f32 v[102:103], v[4:5], v[14:15] neg_lo:[0,1] neg_hi:[0,1]
	v_mov_b32_e32 v32, v7
	v_mov_b32_e32 v16, v9
	v_pk_add_f32 v[96:97], v[40:41], v[12:13] neg_lo:[0,1] neg_hi:[0,1]
	v_pk_add_f32 v[4:5], v[38:39], v[22:23]
	v_mov_b32_e32 v41, v10
	v_mov_b32_e32 v13, v20
	ds_write_b128 v148, v[50:53] offset:64
	v_pk_add_f32 v[116:117], v[32:33], v[16:17] neg_lo:[0,1] neg_hi:[0,1]
	v_pk_add_f32 v[114:115], v[10:11], v[20:21] neg_lo:[0,1] neg_hi:[0,1]
	ds_write_b128 v147, v[2:5]
	v_pk_add_f32 v[2:3], v[40:41], v[12:13]
	v_pk_add_f32 v[98:99], v[38:39], v[22:23] neg_lo:[0,1] neg_hi:[0,1]
	ds_write_b128 v147, v[0:3] offset:16
	v_mov_b32_e32 v94, v103
	v_mov_b32_e32 v95, v117
	;; [unrolled: 1-line block ×8, first 2 shown]
	ds_write_b128 v147, v[92:95] offset:32
	ds_write_b128 v147, v[98:101] offset:48
	;; [unrolled: 1-line block ×3, first 2 shown]
	s_waitcnt lgkmcnt(0)
	; wave barrier
	s_waitcnt lgkmcnt(0)
	ds_read2_b64 v[88:91], v150 offset0:60 offset1:76
	ds_read2_b64 v[72:75], v150 offset0:92 offset1:120
	;; [unrolled: 1-line block ×9, first 2 shown]
	ds_read2_b64 v[24:27], v66 offset1:16
	ds_read2_b64 v[20:23], v66 offset0:120 offset1:136
	ds_read_b64 v[112:113], v104
	ds_read_b64 v[110:111], v150 offset:3616
	v_or_b32_e32 v0, 48, v153
	v_mov_b32_e32 v1, v109
	v_cmp_gt_u64_e32 vcc, 60, v[0:1]
	v_cmp_lt_u64_e64 s[0:1], 59, v[0:1]
	s_and_saveexec_b64 s[2:3], s[0:1]
	s_xor_b64 s[2:3], exec, s[2:3]
	s_or_saveexec_b64 s[2:3], s[2:3]
                                        ; implicit-def: $vgpr106
	s_xor_b64 exec, exec, s[2:3]
	s_cbranch_execz .LBB0_3
; %bb.2:
	v_add_u32_e32 v1, 0x800, v150
	ds_read2_b64 v[96:99], v1 offset0:32 offset1:92
	ds_read2_b64 v[92:95], v150 offset0:48 offset1:108
	;; [unrolled: 1-line block ×4, first 2 shown]
	s_waitcnt lgkmcnt(3)
	v_mov_b32_e32 v114, v97
	v_mov_b32_e32 v115, v98
	;; [unrolled: 1-line block ×3, first 2 shown]
	s_waitcnt lgkmcnt(1)
	v_mov_b32_e32 v116, v103
	v_mov_b32_e32 v117, v95
	v_mov_b32_e32 v103, v94
	v_mov_b64_e32 v[98:99], v[100:101]
.LBB0_3:
	s_or_b64 exec, exec, s[2:3]
	v_mov_b32_e32 v30, 10
	v_mul_lo_u16_e32 v1, 26, v0
	v_accvgpr_write_b32 a64, v1
	v_mul_lo_u16_sdwa v1, v1, v30 dst_sel:DWORD dst_unused:UNUSED_PAD src0_sel:BYTE_1 src1_sel:DWORD
	v_sub_u16_e32 v0, v0, v1
	v_and_b32_e32 v0, 0xff, v0
	v_mad_u64_u32 v[28:29], s[2:3], v0, 56, s[10:11]
	v_accvgpr_write_b32 a65, v0
	global_load_dwordx4 v[4:7], v[28:29], off
	global_load_dwordx4 v[8:11], v[28:29], off offset:16
	global_load_dwordx4 v[0:3], v[28:29], off offset:32
	global_load_dwordx2 v[154:155], v[28:29], off offset:48
	v_add_u32_e32 v28, -10, v153
	v_cmp_gt_u32_e64 s[2:3], 10, v153
	v_lshl_add_u64 v[100:101], s[8:9], 0, v[108:109]
	v_mul_lo_u16_e32 v109, 26, v64
	v_cndmask_b32_e64 v145, v28, v153, s[2:3]
	v_mul_lo_u16_e32 v144, 26, v65
	v_mul_hi_i32_i24_e32 v29, 56, v145
	v_mul_i32_i24_e32 v28, 56, v145
	v_mul_lo_u16_sdwa v31, v109, v30 dst_sel:DWORD dst_unused:UNUSED_PAD src0_sel:BYTE_1 src1_sel:DWORD
	v_mul_lo_u16_sdwa v30, v144, v30 dst_sel:DWORD dst_unused:UNUSED_PAD src0_sel:BYTE_1 src1_sel:DWORD
	v_lshl_add_u64 v[28:29], s[10:11], 0, v[28:29]
	v_sub_u16_e32 v149, v64, v31
	v_sub_u16_e32 v30, v65, v30
	global_load_dwordx2 v[202:203], v[28:29], off offset:48
	global_load_dwordx4 v[40:43], v[28:29], off offset:32
	global_load_dwordx4 v[56:59], v[28:29], off offset:16
	global_load_dwordx4 v[64:67], v[28:29], off
	v_and_b32_e32 v31, 0xff, v149
	v_and_b32_e32 v152, 0xff, v30
	v_mad_u64_u32 v[28:29], s[2:3], v31, 56, s[10:11]
	v_mad_u64_u32 v[52:53], s[2:3], v152, 56, s[10:11]
	global_load_dwordx2 v[188:189], v[28:29], off offset:48
	global_load_dwordx4 v[32:35], v[28:29], off offset:32
	global_load_dwordx4 v[48:51], v[28:29], off offset:16
	global_load_dwordx4 v[60:63], v[28:29], off
	global_load_dwordx2 v[172:173], v[52:53], off offset:48
	s_nop 0
	global_load_dwordx4 v[28:31], v[52:53], off offset:32
	global_load_dwordx4 v[36:39], v[52:53], off offset:16
	s_nop 0
	global_load_dwordx4 v[52:55], v[52:53], off
	v_add_f32_e32 v125, v92, v92
	v_mov_b32_e32 v94, v103
	v_mov_b32_e32 v118, v99
	;; [unrolled: 1-line block ×3, first 2 shown]
	s_waitcnt lgkmcnt(0)
	v_mov_b32_e32 v122, v107
	v_mov_b32_e32 v123, v97
	s_mov_b32 s12, 0x3f3504f3
	v_cmp_lt_u32_e64 s[2:3], 9, v153
	s_waitcnt lgkmcnt(0)
	; wave barrier
	s_waitcnt vmcnt(15)
	v_pk_mul_f32 v[126:127], v[116:117], v[4:5]
	v_pk_mul_f32 v[128:129], v[98:99], v[6:7]
	v_mov_b32_e32 v124, v7
	s_waitcnt vmcnt(14)
	v_mov_b32_e32 v126, v9
	s_waitcnt vmcnt(13)
	v_pk_mul_f32 v[130:131], v[104:105], v[2:3]
	s_waitcnt vmcnt(12)
	v_pk_mul_f32 v[132:133], v[106:107], v[154:155]
	v_mov_b32_e32 v136, v11
	v_mov_b32_e32 v137, v1
	v_mov_b32_e32 v134, v10
	v_mov_b32_e32 v135, v0
	v_mov_b32_e32 v140, v9
	v_mov_b32_e32 v141, v5
	v_mov_b32_e32 v128, v129
	v_pk_mul_f32 v[142:143], v[98:99], v[124:125]
	v_mov_b32_e32 v124, v127
	v_pk_mul_f32 v[126:127], v[116:117], v[126:127]
	v_mov_b32_e32 v130, v131
	v_mov_b32_e32 v132, v133
	v_pk_mul_f32 v[136:137], v[96:97], v[136:137]
	v_pk_mul_f32 v[140:141], v[102:103], v[140:141]
	v_pk_fma_f32 v[98:99], v[98:99], v[6:7], v[128:129] neg_lo:[0,0,1] neg_hi:[0,0,1]
	v_pk_fma_f32 v[94:95], v[94:95], v[4:5], v[124:125] neg_lo:[0,0,1] neg_hi:[0,0,1]
	v_pk_fma_f32 v[128:129], v[118:119], v[6:7], v[142:143]
	v_pk_fma_f32 v[102:103], v[102:103], v[8:9], v[126:127] neg_lo:[0,0,1] neg_hi:[0,0,1]
	v_pk_fma_f32 v[118:119], v[104:105], v[2:3], v[130:131] neg_lo:[0,0,1] neg_hi:[0,0,1]
	v_pk_fma_f32 v[126:127], v[106:107], v[154:155], v[132:133] neg_lo:[0,0,1] neg_hi:[0,0,1]
	v_pk_fma_f32 v[130:131], v[114:115], v[10:11], v[136:137]
	v_pk_fma_f32 v[132:133], v[114:115], v[134:135], v[136:137] neg_lo:[0,0,1] neg_hi:[0,0,1]
	v_pk_add_f32 v[118:119], v[98:99], v[118:119] neg_lo:[0,1] neg_hi:[0,1]
	v_mov_b32_e32 v131, v133
	v_mov_b32_e32 v121, v94
	v_fma_f32 v95, v98, 2.0, -v118
	v_pk_add_f32 v[98:99], v[120:121], v[130:131] neg_lo:[0,1] neg_hi:[0,1]
	v_mov_b32_e32 v107, v115
	v_mov_b32_e32 v130, v155
	;; [unrolled: 1-line block ×3, first 2 shown]
	v_add_f32_e32 v135, v94, v94
	v_pk_add_f32 v[126:127], v[102:103], v[126:127] neg_lo:[0,1] neg_hi:[0,1]
	v_mov_b32_e32 v134, v118
	v_mov_b32_e32 v120, v154
	;; [unrolled: 1-line block ×3, first 2 shown]
	v_pk_mul_f32 v[106:107], v[106:107], v[130:131]
	v_fma_f32 v127, v102, 2.0, -v126
	v_pk_add_f32 v[102:103], v[134:135], v[98:99] neg_lo:[0,1] neg_hi:[0,1]
	v_pk_fma_f32 v[106:107], v[122:123], v[120:121], v[106:107]
	v_mov_b32_e32 v122, v105
	v_mov_b32_e32 v105, v114
	v_mov_b32_e32 v134, v3
	v_mov_b32_e32 v135, v11
	v_mov_b32_e32 v123, v96
	v_mov_b32_e32 v132, v2
	v_mov_b32_e32 v133, v10
	v_pk_mul_f32 v[104:105], v[104:105], v[134:135]
	v_mov_b32_e32 v129, v92
	v_pk_fma_f32 v[134:135], v[122:123], v[2:3], v[104:105]
	v_pk_fma_f32 v[104:105], v[122:123], v[132:133], v[104:105] neg_lo:[0,0,1] neg_hi:[0,0,1]
	v_mov_b32_e32 v138, v8
	v_mov_b32_e32 v135, v105
	v_pk_add_f32 v[122:123], v[128:129], v[134:135] neg_lo:[0,1] neg_hi:[0,1]
	v_mov_b32_e32 v139, v4
	v_mov_b32_e32 v124, v123
	v_pk_add_f32 v[104:105], v[124:125], v[122:123] neg_lo:[0,1] neg_hi:[0,1]
	s_waitcnt vmcnt(8)
	v_pk_mul_f32 v[124:125], v[88:89], v[64:65] op_sel:[0,1]
	v_fma_f32 v92, v128, 2.0, -v122
	v_pk_fma_f32 v[128:129], v[88:89], v[64:65], v[124:125] op_sel:[0,0,1] op_sel_hi:[1,1,0] neg_lo:[0,0,1] neg_hi:[0,0,1]
	v_pk_fma_f32 v[88:89], v[88:89], v[64:65], v[124:125] op_sel:[0,0,1] op_sel_hi:[1,0,0]
	v_pk_fma_f32 v[116:117], v[116:117], v[138:139], v[140:141]
	v_mov_b32_e32 v88, v67
	v_mov_b32_e32 v129, v89
	v_pk_mul_f32 v[88:89], v[74:75], v[88:89] op_sel_hi:[1,0]
	v_pk_add_f32 v[106:107], v[116:117], v[106:107] neg_lo:[0,1] neg_hi:[0,1]
	v_pk_fma_f32 v[124:125], v[74:75], v[66:67], v[88:89] op_sel:[0,0,1] op_sel_hi:[1,1,0] neg_lo:[0,0,1] neg_hi:[0,0,1]
	v_pk_fma_f32 v[74:75], v[74:75], v[66:67], v[88:89] op_sel:[0,0,1] op_sel_hi:[1,0,0]
	v_mov_b32_e32 v120, v99
	v_mov_b32_e32 v125, v75
	v_pk_mul_f32 v[74:75], v[84:85], v[56:57] op_sel:[0,1]
	v_mov_b32_e32 v121, v126
	v_pk_fma_f32 v[88:89], v[84:85], v[56:57], v[74:75] op_sel:[0,0,1] op_sel_hi:[1,1,0] neg_lo:[0,0,1] neg_hi:[0,0,1]
	v_pk_fma_f32 v[74:75], v[84:85], v[56:57], v[74:75] op_sel:[0,0,1] op_sel_hi:[1,0,0]
	v_fma_f32 v97, v117, 2.0, -v107
	v_mov_b32_e32 v74, v59
	v_mov_b32_e32 v89, v75
	v_pk_mul_f32 v[74:75], v[46:47], v[74:75] op_sel_hi:[1,0]
	v_fma_f32 v94, v116, 2.0, -v106
	v_pk_fma_f32 v[84:85], v[46:47], v[58:59], v[74:75] op_sel:[0,0,1] op_sel_hi:[1,1,0] neg_lo:[0,0,1] neg_hi:[0,0,1]
	v_pk_fma_f32 v[46:47], v[46:47], v[58:59], v[74:75] op_sel:[0,0,1] op_sel_hi:[1,0,0]
	v_pk_add_f32 v[116:117], v[120:121], v[106:107] neg_lo:[0,1] neg_hi:[0,1]
	v_mov_b32_e32 v85, v47
	v_pk_mul_f32 v[46:47], v[80:81], v[40:41] op_sel:[0,1]
	v_pk_add_f32 v[118:119], v[118:119], v[98:99]
	v_pk_fma_f32 v[74:75], v[80:81], v[40:41], v[46:47] op_sel:[0,0,1] op_sel_hi:[1,1,0] neg_lo:[0,0,1] neg_hi:[0,0,1]
	v_pk_fma_f32 v[46:47], v[80:81], v[40:41], v[46:47] op_sel:[0,0,1] op_sel_hi:[1,0,0]
	v_sub_f32_e32 v115, v97, v94
	v_mov_b32_e32 v46, v43
	v_mov_b32_e32 v75, v47
	v_pk_mul_f32 v[46:47], v[18:19], v[46:47] op_sel_hi:[1,0]
	v_pk_add_f32 v[74:75], v[128:129], v[74:75] neg_lo:[0,1] neg_hi:[0,1]
	v_pk_fma_f32 v[80:81], v[18:19], v[42:43], v[46:47] op_sel:[0,0,1] op_sel_hi:[1,1,0] neg_lo:[0,0,1] neg_hi:[0,0,1]
	v_pk_fma_f32 v[18:19], v[18:19], v[42:43], v[46:47] op_sel:[0,0,1] op_sel_hi:[1,0,0]
	v_pk_add_f32 v[120:121], v[120:121], v[106:107]
	v_mov_b32_e32 v81, v19
	v_pk_mul_f32 v[18:19], v[76:77], v[202:203] op_sel:[0,1]
	v_pk_add_f32 v[80:81], v[124:125], v[80:81] neg_lo:[0,1] neg_hi:[0,1]
	v_pk_fma_f32 v[46:47], v[76:77], v[202:203], v[18:19] op_sel:[0,0,1] op_sel_hi:[1,1,0] neg_lo:[0,0,1] neg_hi:[0,0,1]
	v_pk_fma_f32 v[18:19], v[76:77], v[202:203], v[18:19] op_sel:[0,0,1] op_sel_hi:[1,0,0]
	v_mul_f32_e32 v94, 0x3f3504f3, v116
	v_mov_b32_e32 v47, v19
	v_pk_add_f32 v[18:19], v[112:113], v[84:85] neg_lo:[0,1] neg_hi:[0,1]
	v_pk_fma_f32 v[84:85], v[124:125], 2.0, v[80:81] op_sel_hi:[1,0,1] neg_lo:[0,0,1] neg_hi:[0,0,1]
	v_pk_add_f32 v[124:125], v[18:19], v[80:81] op_sel:[0,1] op_sel_hi:[1,0] neg_lo:[0,1] neg_hi:[0,1]
	v_pk_add_f32 v[80:81], v[18:19], v[80:81] op_sel:[0,1] op_sel_hi:[1,0]
	v_pk_add_f32 v[46:47], v[88:89], v[46:47] neg_lo:[0,1] neg_hi:[0,1]
	v_mov_b32_e32 v125, v81
	v_pk_fma_f32 v[76:77], v[112:113], 2.0, v[18:19] op_sel_hi:[1,0,1] neg_lo:[0,0,1] neg_hi:[0,0,1]
	v_pk_fma_f32 v[112:113], v[128:129], 2.0, v[74:75] op_sel_hi:[1,0,1] neg_lo:[0,0,1] neg_hi:[0,0,1]
	;; [unrolled: 1-line block ×3, first 2 shown]
	v_pk_add_f32 v[128:129], v[74:75], v[46:47] op_sel:[0,1] op_sel_hi:[1,0] neg_lo:[0,1] neg_hi:[0,1]
	v_pk_add_f32 v[18:19], v[74:75], v[46:47] op_sel:[0,1] op_sel_hi:[1,0]
	v_pk_fma_f32 v[88:89], v[88:89], 2.0, v[46:47] op_sel_hi:[1,0,1] neg_lo:[0,0,1] neg_hi:[0,0,1]
	v_mov_b32_e32 v129, v19
	v_pk_fma_f32 v[18:19], v[74:75], 2.0, v[128:129] op_sel_hi:[1,0,1] neg_lo:[0,0,1] neg_hi:[0,0,1]
	v_mov_b32_e32 v102, v118
	v_pk_mul_f32 v[46:47], v[18:19], s[12:13] op_sel_hi:[1,0]
	v_pk_fma_f32 v[18:19], v[18:19], s[12:13], v[80:81] op_sel_hi:[1,0,1] neg_lo:[1,0,0] neg_hi:[1,0,0]
	v_mul_f32_e32 v126, 0x3f3504f3, v121
	v_pk_add_f32 v[74:75], v[18:19], v[46:47] op_sel:[0,1] op_sel_hi:[1,0] neg_lo:[0,1] neg_hi:[0,1]
	v_pk_add_f32 v[18:19], v[18:19], v[46:47] op_sel:[0,1] op_sel_hi:[1,0]
	v_pk_add_f32 v[46:47], v[104:105], v[94:95]
	v_mov_b32_e32 v75, v19
	v_pk_add_f32 v[18:19], v[104:105], v[94:95] neg_lo:[0,1] neg_hi:[0,1]
	v_pk_add_f32 v[130:131], v[118:119], v[126:127]
	v_pk_add_f32 v[118:119], v[102:103], v[126:127] neg_lo:[0,1] neg_hi:[0,1]
	v_mov_b32_e32 v47, v19
	v_mov_b32_e32 v127, v115
	v_fma_f32 v93, v93, 2.0, -v98
	v_pk_add_f32 v[46:47], v[46:47], v[126:127] neg_lo:[0,1] neg_hi:[0,1]
	v_mov_b32_e32 v131, v119
	v_sub_f32_e32 v95, v93, v92
	v_accvgpr_write_b32 a69, v47
	v_accvgpr_write_b32 a68, v46
	v_pk_add_f32 v[46:47], v[94:95], v[130:131]
	v_mov_b32_e32 v18, 0x50
	v_accvgpr_write_b32 a73, v47
	v_accvgpr_write_b32 a72, v46
	v_pk_add_f32 v[46:47], v[76:77], v[84:85] neg_lo:[0,1] neg_hi:[0,1]
	v_pk_add_f32 v[84:85], v[112:113], v[88:89] neg_lo:[0,1] neg_hi:[0,1]
	v_cndmask_b32_e64 v18, 0, v18, s[2:3]
	v_pk_fma_f32 v[76:77], v[76:77], 2.0, v[46:47] op_sel_hi:[1,0,1] neg_lo:[0,0,1] neg_hi:[0,0,1]
	v_pk_fma_f32 v[88:89], v[112:113], 2.0, v[84:85] op_sel_hi:[1,0,1] neg_lo:[0,0,1] neg_hi:[0,0,1]
	v_or_b32_e32 v18, v145, v18
	v_accvgpr_read_b32 v92, a63
	v_pk_add_f32 v[88:89], v[76:77], v[88:89] neg_lo:[0,1] neg_hi:[0,1]
	v_add_lshl_u32 v151, v92, v18, 3
	v_pk_fma_f32 v[76:77], v[76:77], 2.0, v[88:89] op_sel_hi:[1,0,1] neg_lo:[0,0,1] neg_hi:[0,0,1]
	v_pk_fma_f32 v[80:81], v[80:81], 2.0, v[74:75] op_sel_hi:[1,0,1] neg_lo:[0,0,1] neg_hi:[0,0,1]
	s_movk_i32 s13, 0x50
	ds_write2_b64 v151, v[76:77], v[80:81] offset1:10
	v_pk_add_f32 v[76:77], v[46:47], v[84:85] op_sel:[0,1] op_sel_hi:[1,0] neg_lo:[0,1] neg_hi:[0,1]
	v_pk_add_f32 v[80:81], v[46:47], v[84:85] op_sel:[0,1] op_sel_hi:[1,0]
	v_pk_fma_f32 v[84:85], v[128:129], s[12:13], v[124:125] op_sel_hi:[1,0,1]
	v_mov_b32_e32 v77, v81
	v_pk_mul_f32 v[80:81], v[128:129], s[12:13] op_sel_hi:[1,0]
	v_mul_lo_u16_sdwa v18, v109, s13 dst_sel:DWORD dst_unused:UNUSED_PAD src0_sel:BYTE_1 src1_sel:DWORD
	v_pk_add_f32 v[112:113], v[84:85], v[80:81] op_sel:[0,1] op_sel_hi:[1,0] neg_lo:[0,1] neg_hi:[0,1]
	v_pk_add_f32 v[80:81], v[84:85], v[80:81] op_sel:[0,1] op_sel_hi:[1,0]
	v_pk_fma_f32 v[46:47], v[46:47], 2.0, v[76:77] op_sel_hi:[1,0,1] neg_lo:[0,0,1] neg_hi:[0,0,1]
	v_mov_b32_e32 v113, v81
	v_pk_fma_f32 v[80:81], v[124:125], 2.0, v[112:113] op_sel_hi:[1,0,1] neg_lo:[0,0,1] neg_hi:[0,0,1]
	v_or_b32_e32 v18, v18, v149
	ds_write2_b64 v151, v[46:47], v[80:81] offset0:20 offset1:30
	ds_write2_b64 v151, v[88:89], v[74:75] offset0:40 offset1:50
	;; [unrolled: 1-line block ×3, first 2 shown]
	v_and_b32_e32 v18, 0xff, v18
	s_waitcnt vmcnt(4)
	v_pk_mul_f32 v[46:47], v[90:91], v[60:61] op_sel:[0,1]
	v_add_lshl_u32 v84, v92, v18, 3
	v_pk_fma_f32 v[74:75], v[90:91], v[60:61], v[46:47] op_sel:[0,0,1] op_sel_hi:[1,1,0] neg_lo:[0,0,1] neg_hi:[0,0,1]
	v_pk_fma_f32 v[46:47], v[90:91], v[60:61], v[46:47] op_sel:[0,0,1] op_sel_hi:[1,0,0]
	v_mov_b32_e32 v18, v63
	v_mov_b32_e32 v75, v47
	v_pk_mul_f32 v[46:47], v[68:69], v[18:19] op_sel_hi:[1,0]
	v_mov_b32_e32 v18, v51
	v_pk_fma_f32 v[76:77], v[68:69], v[62:63], v[46:47] op_sel:[0,0,1] op_sel_hi:[1,1,0] neg_lo:[0,0,1] neg_hi:[0,0,1]
	v_pk_fma_f32 v[46:47], v[68:69], v[62:63], v[46:47] op_sel:[0,0,1] op_sel_hi:[1,0,0]
	v_accvgpr_write_b32 a66, v154
	v_mov_b32_e32 v77, v47
	v_pk_mul_f32 v[46:47], v[86:87], v[48:49] op_sel:[0,1]
	v_accvgpr_write_b32 a67, v155
	v_pk_fma_f32 v[68:69], v[86:87], v[48:49], v[46:47] op_sel:[0,0,1] op_sel_hi:[1,1,0] neg_lo:[0,0,1] neg_hi:[0,0,1]
	v_pk_fma_f32 v[46:47], v[86:87], v[48:49], v[46:47] op_sel:[0,0,1] op_sel_hi:[1,0,0]
	v_accvgpr_write_b32 a76, v84
	v_mov_b32_e32 v69, v47
	v_pk_mul_f32 v[46:47], v[24:25], v[18:19] op_sel_hi:[1,0]
	v_mov_b32_e32 v18, v35
	v_pk_fma_f32 v[80:81], v[24:25], v[50:51], v[46:47] op_sel:[0,0,1] op_sel_hi:[1,1,0] neg_lo:[0,0,1] neg_hi:[0,0,1]
	v_pk_fma_f32 v[24:25], v[24:25], v[50:51], v[46:47] op_sel:[0,0,1] op_sel_hi:[1,0,0]
	s_nop 0
	v_mov_b32_e32 v81, v25
	v_pk_mul_f32 v[24:25], v[82:83], v[32:33] op_sel:[0,1]
	s_nop 0
	v_pk_fma_f32 v[46:47], v[82:83], v[32:33], v[24:25] op_sel:[0,0,1] op_sel_hi:[1,1,0] neg_lo:[0,0,1] neg_hi:[0,0,1]
	v_pk_fma_f32 v[24:25], v[82:83], v[32:33], v[24:25] op_sel:[0,0,1] op_sel_hi:[1,0,0]
	s_nop 0
	v_mov_b32_e32 v47, v25
	v_pk_mul_f32 v[24:25], v[20:21], v[18:19] op_sel_hi:[1,0]
	v_pk_add_f32 v[46:47], v[74:75], v[46:47] neg_lo:[0,1] neg_hi:[0,1]
	v_pk_fma_f32 v[82:83], v[20:21], v[34:35], v[24:25] op_sel:[0,0,1] op_sel_hi:[1,1,0] neg_lo:[0,0,1] neg_hi:[0,0,1]
	v_pk_fma_f32 v[20:21], v[20:21], v[34:35], v[24:25] op_sel:[0,0,1] op_sel_hi:[1,0,0]
	v_pk_fma_f32 v[74:75], v[74:75], 2.0, v[46:47] op_sel_hi:[1,0,1] neg_lo:[0,0,1] neg_hi:[0,0,1]
	v_mov_b32_e32 v83, v21
	v_pk_mul_f32 v[20:21], v[78:79], v[188:189] op_sel:[0,1]
	s_nop 0
	v_pk_fma_f32 v[24:25], v[78:79], v[188:189], v[20:21] op_sel:[0,0,1] op_sel_hi:[1,1,0] neg_lo:[0,0,1] neg_hi:[0,0,1]
	v_pk_fma_f32 v[20:21], v[78:79], v[188:189], v[20:21] op_sel:[0,0,1] op_sel_hi:[1,0,0]
	v_pk_add_f32 v[78:79], v[76:77], v[82:83] neg_lo:[0,1] neg_hi:[0,1]
	v_mov_b32_e32 v25, v21
	v_pk_add_f32 v[20:21], v[12:13], v[80:81] neg_lo:[0,1] neg_hi:[0,1]
	v_pk_fma_f32 v[76:77], v[76:77], 2.0, v[78:79] op_sel_hi:[1,0,1] neg_lo:[0,0,1] neg_hi:[0,0,1]
	v_pk_add_f32 v[24:25], v[68:69], v[24:25] neg_lo:[0,1] neg_hi:[0,1]
	v_pk_add_f32 v[80:81], v[20:21], v[78:79] op_sel:[0,1] op_sel_hi:[1,0] neg_lo:[0,1] neg_hi:[0,1]
	v_pk_add_f32 v[78:79], v[20:21], v[78:79] op_sel:[0,1] op_sel_hi:[1,0]
	v_pk_fma_f32 v[68:69], v[68:69], 2.0, v[24:25] op_sel_hi:[1,0,1] neg_lo:[0,0,1] neg_hi:[0,0,1]
	v_mov_b32_e32 v81, v79
	v_pk_add_f32 v[78:79], v[46:47], v[24:25] op_sel:[0,1] op_sel_hi:[1,0] neg_lo:[0,1] neg_hi:[0,1]
	v_pk_add_f32 v[24:25], v[46:47], v[24:25] op_sel:[0,1] op_sel_hi:[1,0]
	v_pk_fma_f32 v[12:13], v[12:13], 2.0, v[20:21] op_sel_hi:[1,0,1] neg_lo:[0,0,1] neg_hi:[0,0,1]
	v_mov_b32_e32 v79, v25
	v_pk_fma_f32 v[20:21], v[20:21], 2.0, v[80:81] op_sel_hi:[1,0,1] neg_lo:[0,0,1] neg_hi:[0,0,1]
	v_pk_fma_f32 v[24:25], v[46:47], 2.0, v[78:79] op_sel_hi:[1,0,1] neg_lo:[0,0,1] neg_hi:[0,0,1]
	v_pk_add_f32 v[76:77], v[12:13], v[76:77] neg_lo:[0,1] neg_hi:[0,1]
	v_pk_add_f32 v[68:69], v[74:75], v[68:69] neg_lo:[0,1] neg_hi:[0,1]
	v_pk_mul_f32 v[46:47], v[24:25], s[12:13] op_sel_hi:[1,0]
	v_pk_fma_f32 v[24:25], v[24:25], s[12:13], v[20:21] op_sel_hi:[1,0,1] neg_lo:[1,0,0] neg_hi:[1,0,0]
	v_pk_fma_f32 v[12:13], v[12:13], 2.0, v[76:77] op_sel_hi:[1,0,1] neg_lo:[0,0,1] neg_hi:[0,0,1]
	v_pk_fma_f32 v[74:75], v[74:75], 2.0, v[68:69] op_sel_hi:[1,0,1] neg_lo:[0,0,1] neg_hi:[0,0,1]
	v_pk_add_f32 v[82:83], v[24:25], v[46:47] op_sel:[0,1] op_sel_hi:[1,0] neg_lo:[0,1] neg_hi:[0,1]
	v_pk_add_f32 v[24:25], v[24:25], v[46:47] op_sel:[0,1] op_sel_hi:[1,0]
	v_pk_add_f32 v[74:75], v[12:13], v[74:75] neg_lo:[0,1] neg_hi:[0,1]
	v_mov_b32_e32 v83, v25
	v_pk_fma_f32 v[12:13], v[12:13], 2.0, v[74:75] op_sel_hi:[1,0,1] neg_lo:[0,0,1] neg_hi:[0,0,1]
	v_pk_fma_f32 v[20:21], v[20:21], 2.0, v[82:83] op_sel_hi:[1,0,1] neg_lo:[0,0,1] neg_hi:[0,0,1]
	v_pk_mul_f32 v[24:25], v[78:79], s[12:13] op_sel_hi:[1,0]
	v_pk_fma_f32 v[46:47], v[78:79], s[12:13], v[80:81] op_sel_hi:[1,0,1]
	ds_write2_b64 v84, v[12:13], v[20:21] offset1:10
	v_pk_add_f32 v[12:13], v[76:77], v[68:69] op_sel:[0,1] op_sel_hi:[1,0] neg_lo:[0,1] neg_hi:[0,1]
	v_pk_add_f32 v[20:21], v[76:77], v[68:69] op_sel:[0,1] op_sel_hi:[1,0]
	v_pk_add_f32 v[68:69], v[46:47], v[24:25] op_sel:[0,1] op_sel_hi:[1,0] neg_lo:[0,1] neg_hi:[0,1]
	v_pk_add_f32 v[24:25], v[46:47], v[24:25] op_sel:[0,1] op_sel_hi:[1,0]
	v_mov_b32_e32 v13, v21
	v_mov_b32_e32 v69, v25
	v_pk_fma_f32 v[20:21], v[76:77], 2.0, v[12:13] op_sel_hi:[1,0,1] neg_lo:[0,0,1] neg_hi:[0,0,1]
	v_pk_fma_f32 v[24:25], v[80:81], 2.0, v[68:69] op_sel_hi:[1,0,1] neg_lo:[0,0,1] neg_hi:[0,0,1]
	ds_write2_b64 v84, v[20:21], v[24:25] offset0:20 offset1:30
	ds_write2_b64 v84, v[74:75], v[82:83] offset0:40 offset1:50
	;; [unrolled: 1-line block ×3, first 2 shown]
	v_mul_u32_u24_sdwa v12, v144, s13 dst_sel:DWORD dst_unused:UNUSED_PAD src0_sel:BYTE_1 src1_sel:DWORD
	v_or_b32_e32 v12, v12, v152
	v_add_lshl_u32 v18, v92, v12, 3
	s_waitcnt vmcnt(0)
	v_pk_mul_f32 v[12:13], v[72:73], v[52:53] op_sel:[0,1]
	v_accvgpr_write_b32 a77, v18
	v_pk_fma_f32 v[20:21], v[72:73], v[52:53], v[12:13] op_sel:[0,0,1] op_sel_hi:[1,1,0] neg_lo:[0,0,1] neg_hi:[0,0,1]
	v_pk_fma_f32 v[12:13], v[72:73], v[52:53], v[12:13] op_sel:[0,0,1] op_sel_hi:[1,0,0]
	s_nop 0
	v_mov_b32_e32 v12, v55
	v_mov_b32_e32 v21, v13
	v_pk_mul_f32 v[12:13], v[70:71], v[12:13] op_sel_hi:[1,0]
	s_nop 0
	v_pk_fma_f32 v[24:25], v[70:71], v[54:55], v[12:13] op_sel:[0,0,1] op_sel_hi:[1,1,0] neg_lo:[0,0,1] neg_hi:[0,0,1]
	v_pk_fma_f32 v[12:13], v[70:71], v[54:55], v[12:13] op_sel:[0,0,1] op_sel_hi:[1,0,0]
	s_nop 0
	v_mov_b32_e32 v25, v13
	v_pk_mul_f32 v[12:13], v[44:45], v[36:37] op_sel:[0,1]
	s_nop 0
	v_pk_fma_f32 v[46:47], v[44:45], v[36:37], v[12:13] op_sel:[0,0,1] op_sel_hi:[1,1,0] neg_lo:[0,0,1] neg_hi:[0,0,1]
	v_pk_fma_f32 v[12:13], v[44:45], v[36:37], v[12:13] op_sel:[0,0,1] op_sel_hi:[1,0,0]
	s_nop 0
	v_mov_b32_e32 v12, v39
	v_mov_b32_e32 v47, v13
	v_pk_mul_f32 v[12:13], v[26:27], v[12:13] op_sel_hi:[1,0]
	s_nop 0
	v_pk_fma_f32 v[44:45], v[26:27], v[38:39], v[12:13] op_sel:[0,0,1] op_sel_hi:[1,1,0] neg_lo:[0,0,1] neg_hi:[0,0,1]
	v_pk_fma_f32 v[12:13], v[26:27], v[38:39], v[12:13] op_sel:[0,0,1] op_sel_hi:[1,0,0]
	s_nop 0
	v_mov_b32_e32 v45, v13
	v_pk_mul_f32 v[12:13], v[16:17], v[28:29] op_sel:[0,1]
	s_nop 0
	v_pk_fma_f32 v[26:27], v[16:17], v[28:29], v[12:13] op_sel:[0,0,1] op_sel_hi:[1,1,0] neg_lo:[0,0,1] neg_hi:[0,0,1]
	v_pk_fma_f32 v[12:13], v[16:17], v[28:29], v[12:13] op_sel:[0,0,1] op_sel_hi:[1,0,0]
	s_nop 0
	v_mov_b32_e32 v12, v31
	v_mov_b32_e32 v27, v13
	v_pk_mul_f32 v[12:13], v[22:23], v[12:13] op_sel_hi:[1,0]
	v_pk_add_f32 v[26:27], v[20:21], v[26:27] neg_lo:[0,1] neg_hi:[0,1]
	v_pk_fma_f32 v[16:17], v[22:23], v[30:31], v[12:13] op_sel:[0,0,1] op_sel_hi:[1,1,0] neg_lo:[0,0,1] neg_hi:[0,0,1]
	v_pk_fma_f32 v[12:13], v[22:23], v[30:31], v[12:13] op_sel:[0,0,1] op_sel_hi:[1,0,0]
	v_pk_fma_f32 v[20:21], v[20:21], 2.0, v[26:27] op_sel_hi:[1,0,1] neg_lo:[0,0,1] neg_hi:[0,0,1]
	v_mov_b32_e32 v17, v13
	v_pk_mul_f32 v[12:13], v[110:111], v[172:173] op_sel:[0,1]
	v_pk_add_f32 v[16:17], v[24:25], v[16:17] neg_lo:[0,1] neg_hi:[0,1]
	v_pk_fma_f32 v[22:23], v[110:111], v[172:173], v[12:13] op_sel:[0,0,1] op_sel_hi:[1,1,0] neg_lo:[0,0,1] neg_hi:[0,0,1]
	v_pk_fma_f32 v[12:13], v[110:111], v[172:173], v[12:13] op_sel:[0,0,1] op_sel_hi:[1,0,0]
	v_pk_fma_f32 v[24:25], v[24:25], 2.0, v[16:17] op_sel_hi:[1,0,1] neg_lo:[0,0,1] neg_hi:[0,0,1]
	v_mov_b32_e32 v23, v13
	v_pk_add_f32 v[12:13], v[14:15], v[44:45] neg_lo:[0,1] neg_hi:[0,1]
	v_pk_add_f32 v[22:23], v[46:47], v[22:23] neg_lo:[0,1] neg_hi:[0,1]
	v_pk_fma_f32 v[14:15], v[14:15], 2.0, v[12:13] op_sel_hi:[1,0,1] neg_lo:[0,0,1] neg_hi:[0,0,1]
	v_pk_fma_f32 v[44:45], v[46:47], 2.0, v[22:23] op_sel_hi:[1,0,1] neg_lo:[0,0,1] neg_hi:[0,0,1]
	v_pk_add_f32 v[46:47], v[12:13], v[16:17] op_sel:[0,1] op_sel_hi:[1,0] neg_lo:[0,1] neg_hi:[0,1]
	v_pk_add_f32 v[16:17], v[12:13], v[16:17] op_sel:[0,1] op_sel_hi:[1,0]
	v_pk_add_f32 v[24:25], v[14:15], v[24:25] neg_lo:[0,1] neg_hi:[0,1]
	v_mov_b32_e32 v47, v17
	v_pk_add_f32 v[16:17], v[26:27], v[22:23] op_sel:[0,1] op_sel_hi:[1,0] neg_lo:[0,1] neg_hi:[0,1]
	v_pk_add_f32 v[22:23], v[26:27], v[22:23] op_sel:[0,1] op_sel_hi:[1,0]
	v_pk_fma_f32 v[12:13], v[12:13], 2.0, v[46:47] op_sel_hi:[1,0,1] neg_lo:[0,0,1] neg_hi:[0,0,1]
	v_mov_b32_e32 v17, v23
	v_pk_fma_f32 v[22:23], v[26:27], 2.0, v[16:17] op_sel_hi:[1,0,1] neg_lo:[0,0,1] neg_hi:[0,0,1]
	v_pk_add_f32 v[44:45], v[20:21], v[44:45] neg_lo:[0,1] neg_hi:[0,1]
	v_pk_mul_f32 v[26:27], v[22:23], s[12:13] op_sel_hi:[1,0]
	v_pk_fma_f32 v[22:23], v[22:23], s[12:13], v[12:13] op_sel_hi:[1,0,1] neg_lo:[1,0,0] neg_hi:[1,0,0]
	v_pk_fma_f32 v[14:15], v[14:15], 2.0, v[24:25] op_sel_hi:[1,0,1] neg_lo:[0,0,1] neg_hi:[0,0,1]
	v_pk_fma_f32 v[20:21], v[20:21], 2.0, v[44:45] op_sel_hi:[1,0,1] neg_lo:[0,0,1] neg_hi:[0,0,1]
	v_pk_add_f32 v[68:69], v[22:23], v[26:27] op_sel:[0,1] op_sel_hi:[1,0] neg_lo:[0,1] neg_hi:[0,1]
	v_pk_add_f32 v[22:23], v[22:23], v[26:27] op_sel:[0,1] op_sel_hi:[1,0]
	v_pk_add_f32 v[20:21], v[14:15], v[20:21] neg_lo:[0,1] neg_hi:[0,1]
	v_mov_b32_e32 v69, v23
	v_pk_fma_f32 v[14:15], v[14:15], 2.0, v[20:21] op_sel_hi:[1,0,1] neg_lo:[0,0,1] neg_hi:[0,0,1]
	v_pk_fma_f32 v[12:13], v[12:13], 2.0, v[68:69] op_sel_hi:[1,0,1] neg_lo:[0,0,1] neg_hi:[0,0,1]
	ds_write2_b64 v18, v[14:15], v[12:13] offset1:10
	v_pk_add_f32 v[12:13], v[24:25], v[44:45] op_sel:[0,1] op_sel_hi:[1,0] neg_lo:[0,1] neg_hi:[0,1]
	v_pk_add_f32 v[14:15], v[24:25], v[44:45] op_sel:[0,1] op_sel_hi:[1,0]
	v_pk_mul_f32 v[22:23], v[16:17], s[12:13] op_sel_hi:[1,0]
	v_mov_b32_e32 v13, v15
	v_pk_fma_f32 v[16:17], v[16:17], s[12:13], v[46:47] op_sel_hi:[1,0,1]
	v_pk_fma_f32 v[14:15], v[24:25], 2.0, v[12:13] op_sel_hi:[1,0,1] neg_lo:[0,0,1] neg_hi:[0,0,1]
	v_pk_add_f32 v[24:25], v[16:17], v[22:23] op_sel:[0,1] op_sel_hi:[1,0] neg_lo:[0,1] neg_hi:[0,1]
	v_pk_add_f32 v[16:17], v[16:17], v[22:23] op_sel:[0,1] op_sel_hi:[1,0]
	s_nop 0
	v_mov_b32_e32 v25, v17
	v_pk_fma_f32 v[16:17], v[46:47], 2.0, v[24:25] op_sel_hi:[1,0,1] neg_lo:[0,0,1] neg_hi:[0,0,1]
	ds_write2_b64 v18, v[14:15], v[16:17] offset0:20 offset1:30
	ds_write2_b64 v18, v[20:21], v[68:69] offset0:40 offset1:50
	;; [unrolled: 1-line block ×3, first 2 shown]
	s_and_saveexec_b64 s[2:3], vcc
	s_cbranch_execz .LBB0_5
; %bb.4:
	v_mov_b32_e32 v106, v99
	v_mov_b32_e32 v117, v121
	;; [unrolled: 1-line block ×6, first 2 shown]
	v_accvgpr_read_b32 v12, a64
	v_pk_fma_f32 v[16:17], v[106:107], 2.0, v[116:117] op_sel_hi:[1,0,1] neg_lo:[0,0,1] neg_hi:[0,0,1]
	v_pk_fma_f32 v[20:21], v[20:21], 2.0, v[104:105] op_sel_hi:[1,0,1] neg_lo:[0,0,1] neg_hi:[0,0,1]
	v_mul_u32_u24_sdwa v12, v12, s13 dst_sel:DWORD dst_unused:UNUSED_PAD src0_sel:BYTE_1 src1_sel:DWORD
	v_accvgpr_read_b32 v13, a65
	v_mov_b32_e32 v94, v19
	v_pk_mul_f32 v[18:19], v[16:17], s[12:13] op_sel_hi:[1,0]
	v_pk_fma_f32 v[16:17], v[16:17], s[12:13], v[20:21] op_sel_hi:[1,0,1] neg_lo:[1,0,0] neg_hi:[1,0,0]
	v_or_b32_e32 v12, v12, v13
	v_accvgpr_read_b32 v13, a63
	v_mov_b32_e32 v96, v103
	v_mov_b32_e32 v114, v119
	v_pk_add_f32 v[22:23], v[16:17], v[18:19] op_sel:[0,1] op_sel_hi:[1,0] neg_lo:[0,1] neg_hi:[0,1]
	v_pk_add_f32 v[16:17], v[16:17], v[18:19] op_sel:[0,1] op_sel_hi:[1,0]
	v_add_lshl_u32 v24, v13, v12, 3
	v_pk_fma_f32 v[12:13], v[92:93], 2.0, v[94:95] op_sel_hi:[1,0,1] neg_lo:[0,0,1] neg_hi:[0,0,1]
	v_pk_fma_f32 v[14:15], v[96:97], 2.0, v[114:115] op_sel_hi:[1,0,1] neg_lo:[0,0,1] neg_hi:[0,0,1]
	v_mov_b32_e32 v23, v17
	v_pk_add_f32 v[14:15], v[12:13], v[14:15] neg_lo:[0,1] neg_hi:[0,1]
	v_pk_fma_f32 v[16:17], v[20:21], 2.0, v[22:23] op_sel_hi:[1,0,1] neg_lo:[0,0,1] neg_hi:[0,0,1]
	v_accvgpr_read_b32 v18, a68
	v_accvgpr_read_b32 v20, a72
	v_pk_fma_f32 v[12:13], v[12:13], 2.0, v[14:15] op_sel_hi:[1,0,1] neg_lo:[0,0,1] neg_hi:[0,0,1]
	v_accvgpr_read_b32 v19, a69
	v_accvgpr_read_b32 v21, a73
	ds_write2_b64 v24, v[12:13], v[16:17] offset1:10
	v_mov_b32_e32 v12, v19
	v_mov_b32_e32 v13, v21
	;; [unrolled: 1-line block ×3, first 2 shown]
	v_pk_fma_f32 v[16:17], v[94:95], 2.0, v[12:13] op_sel_hi:[1,0,1] neg_lo:[0,0,1] neg_hi:[0,0,1]
	v_pk_fma_f32 v[20:21], v[104:105], 2.0, v[18:19] op_sel_hi:[1,0,1] neg_lo:[0,0,1] neg_hi:[0,0,1]
	ds_write2_b64 v24, v[16:17], v[20:21] offset0:20 offset1:30
	ds_write2_b64 v24, v[14:15], v[22:23] offset0:40 offset1:50
	;; [unrolled: 1-line block ×3, first 2 shown]
.LBB0_5:
	s_or_b64 exec, exec, s[2:3]
	v_mad_u64_u32 v[16:17], s[2:3], v153, 40, s[10:11]
	s_waitcnt lgkmcnt(0)
	; wave barrier
	s_waitcnt lgkmcnt(0)
	global_load_dwordx4 v[88:91], v[16:17], off offset:560
	global_load_dwordx4 v[84:87], v[16:17], off offset:576
	global_load_dwordx2 v[162:163], v[16:17], off offset:592
	global_load_dwordx4 v[24:27], v[16:17], off offset:1200
	global_load_dwordx4 v[20:23], v[16:17], off offset:1216
	global_load_dwordx2 v[222:223], v[16:17], off offset:1232
	global_load_dwordx4 v[12:15], v[16:17], off offset:1840
	ds_read2_b64 v[102:105], v150 offset0:80 offset1:96
	ds_read2_b64 v[96:99], v150 offset0:144 offset1:160
	ds_read2_b64 v[92:95], v150 offset0:16 offset1:32
	ds_read2_b64 v[110:113], v150 offset0:176 offset1:192
	global_load_dwordx4 v[44:47], v[16:17], off offset:1856
	v_accvgpr_read_b32 v204, a1
	ds_read2_b64 v[114:117], v150 offset0:112 offset1:128
	ds_read_b64 v[106:107], v204
	ds_read_b64 v[142:143], v150 offset:3712
	global_load_dwordx2 v[224:225], v[16:17], off offset:2512
	global_load_dwordx4 v[76:79], v[16:17], off offset:2496
	global_load_dwordx2 v[226:227], v[16:17], off offset:1872
	global_load_dwordx4 v[80:83], v[16:17], off offset:2480
	;; [unrolled: 2-line block ×3, first 2 shown]
	global_load_dwordx4 v[72:75], v[16:17], off offset:3120
	v_add_u32_e32 v19, 0x400, v150
	v_add_u32_e32 v18, 0x800, v150
	ds_read2_b64 v[118:121], v19 offset0:112 offset1:128
	ds_read2_b64 v[122:125], v18 offset0:48 offset1:64
	;; [unrolled: 1-line block ×6, first 2 shown]
	v_accvgpr_write_b32 a0, v153
	s_mov_b32 s2, 0x3f5db3d7
	s_mov_b32 s3, 0xbf5db3d7
	;; [unrolled: 1-line block ×7, first 2 shown]
	s_waitcnt vmcnt(14) lgkmcnt(12)
	v_pk_mul_f32 v[16:17], v[102:103], v[88:89] op_sel:[0,1]
	v_mov_b32_e32 v144, v91
	s_waitcnt vmcnt(13) lgkmcnt(5)
	v_pk_mul_f32 v[152:153], v[118:119], v[84:85] op_sel:[0,1]
	v_mov_b32_e32 v154, v87
	s_waitcnt vmcnt(12) lgkmcnt(3)
	v_pk_mul_f32 v[156:157], v[126:127], v[162:163] op_sel:[0,1]
	s_waitcnt vmcnt(11)
	v_pk_mul_f32 v[158:159], v[104:105], v[24:25] op_sel:[0,1]
	v_mov_b32_e32 v160, v27
	s_waitcnt vmcnt(10)
	v_pk_mul_f32 v[164:165], v[120:121], v[20:21] op_sel:[0,1]
	v_mov_b32_e32 v166, v23
	s_waitcnt vmcnt(9)
	v_pk_mul_f32 v[168:169], v[128:129], v[222:223] op_sel:[0,1]
	v_pk_fma_f32 v[170:171], v[102:103], v[88:89], v[16:17] op_sel:[0,0,1] op_sel_hi:[1,1,0] neg_lo:[0,0,1] neg_hi:[0,0,1]
	v_pk_fma_f32 v[16:17], v[102:103], v[88:89], v[16:17] op_sel:[0,0,1] op_sel_hi:[1,0,0]
	v_pk_mul_f32 v[102:103], v[98:99], v[144:145] op_sel_hi:[1,0]
	v_pk_fma_f32 v[144:145], v[118:119], v[84:85], v[152:153] op_sel:[0,0,1] op_sel_hi:[1,1,0] neg_lo:[0,0,1] neg_hi:[0,0,1]
	v_pk_fma_f32 v[118:119], v[118:119], v[84:85], v[152:153] op_sel:[0,0,1] op_sel_hi:[1,0,0]
	v_pk_mul_f32 v[152:153], v[124:125], v[154:155] op_sel_hi:[1,0]
	v_pk_fma_f32 v[154:155], v[126:127], v[162:163], v[156:157] op_sel:[0,0,1] op_sel_hi:[1,1,0] neg_lo:[0,0,1] neg_hi:[0,0,1]
	v_pk_fma_f32 v[126:127], v[126:127], v[162:163], v[156:157] op_sel:[0,0,1] op_sel_hi:[1,0,0]
	v_pk_fma_f32 v[156:157], v[104:105], v[24:25], v[158:159] op_sel:[0,0,1] op_sel_hi:[1,1,0] neg_lo:[0,0,1] neg_hi:[0,0,1]
	v_pk_fma_f32 v[104:105], v[104:105], v[24:25], v[158:159] op_sel:[0,0,1] op_sel_hi:[1,0,0]
	v_pk_mul_f32 v[158:159], v[110:111], v[160:161] op_sel_hi:[1,0]
	v_pk_fma_f32 v[160:161], v[120:121], v[20:21], v[164:165] op_sel:[0,0,1] op_sel_hi:[1,1,0] neg_lo:[0,0,1] neg_hi:[0,0,1]
	v_pk_fma_f32 v[120:121], v[120:121], v[20:21], v[164:165] op_sel:[0,0,1] op_sel_hi:[1,0,0]
	s_waitcnt lgkmcnt(2)
	v_pk_mul_f32 v[164:165], v[130:131], v[166:167] op_sel_hi:[1,0]
	v_pk_fma_f32 v[166:167], v[128:129], v[222:223], v[168:169] op_sel:[0,0,1] op_sel_hi:[1,1,0] neg_lo:[0,0,1] neg_hi:[0,0,1]
	v_pk_fma_f32 v[128:129], v[128:129], v[222:223], v[168:169] op_sel:[0,0,1] op_sel_hi:[1,0,0]
	v_mov_b32_e32 v171, v17
	v_pk_fma_f32 v[16:17], v[98:99], v[90:91], v[102:103] op_sel:[0,0,1] op_sel_hi:[1,1,0] neg_lo:[0,0,1] neg_hi:[0,0,1]
	v_pk_fma_f32 v[98:99], v[98:99], v[90:91], v[102:103] op_sel:[0,0,1] op_sel_hi:[1,0,0]
	v_pk_fma_f32 v[168:169], v[124:125], v[86:87], v[152:153] op_sel:[0,0,1] op_sel_hi:[1,1,0] neg_lo:[0,0,1] neg_hi:[0,0,1]
	v_pk_fma_f32 v[102:103], v[124:125], v[86:87], v[152:153] op_sel:[0,0,1] op_sel_hi:[1,0,0]
	v_mov_b32_e32 v157, v105
	v_mov_b32_e32 v161, v121
	;; [unrolled: 1-line block ×4, first 2 shown]
	v_pk_add_f32 v[102:103], v[156:157], v[160:161]
	v_mov_b32_e32 v145, v119
	v_pk_add_f32 v[128:129], v[102:103], v[166:167]
	s_waitcnt vmcnt(8)
	v_pk_mul_f32 v[102:103], v[114:115], v[12:13] op_sel:[0,1]
	v_pk_fma_f32 v[124:125], v[110:111], v[26:27], v[158:159] op_sel:[0,0,1] op_sel_hi:[1,1,0] neg_lo:[0,0,1] neg_hi:[0,0,1]
	v_pk_fma_f32 v[174:175], v[114:115], v[12:13], v[102:103] op_sel:[0,0,1] op_sel_hi:[1,1,0] neg_lo:[0,0,1] neg_hi:[0,0,1]
	v_pk_fma_f32 v[102:103], v[114:115], v[12:13], v[102:103] op_sel:[0,0,1] op_sel_hi:[1,0,0]
	v_pk_fma_f32 v[104:105], v[110:111], v[26:27], v[158:159] op_sel:[0,0,1] op_sel_hi:[1,0,0]
	v_mov_b32_e32 v102, v15
	v_mov_b32_e32 v175, v103
	v_pk_mul_f32 v[102:103], v[112:113], v[102:103] op_sel_hi:[1,0]
	v_mov_b32_e32 v17, v99
	v_pk_fma_f32 v[114:115], v[112:113], v[14:15], v[102:103] op_sel:[0,0,1] op_sel_hi:[1,1,0] neg_lo:[0,0,1] neg_hi:[0,0,1]
	v_pk_fma_f32 v[102:103], v[112:113], v[14:15], v[102:103] op_sel:[0,0,1] op_sel_hi:[1,0,0]
	v_mov_b32_e32 v155, v127
	v_mov_b32_e32 v115, v103
	s_waitcnt vmcnt(7) lgkmcnt(1)
	v_pk_mul_f32 v[102:103], v[134:135], v[44:45] op_sel:[0,1]
	v_pk_add_f32 v[98:99], v[170:171], v[144:145]
	v_pk_fma_f32 v[176:177], v[134:135], v[44:45], v[102:103] op_sel:[0,0,1] op_sel_hi:[1,1,0] neg_lo:[0,0,1] neg_hi:[0,0,1]
	v_pk_fma_f32 v[102:103], v[134:135], v[44:45], v[102:103] op_sel:[0,0,1] op_sel_hi:[1,0,0]
	v_mov_b32_e32 v125, v105
	v_mov_b32_e32 v102, v47
	;; [unrolled: 1-line block ×3, first 2 shown]
	v_pk_mul_f32 v[102:103], v[132:133], v[102:103] op_sel_hi:[1,0]
	v_pk_add_f32 v[104:105], v[106:107], v[16:17]
	v_pk_fma_f32 v[134:135], v[132:133], v[46:47], v[102:103] op_sel:[0,0,1] op_sel_hi:[1,1,0] neg_lo:[0,0,1] neg_hi:[0,0,1]
	v_pk_fma_f32 v[102:103], v[132:133], v[46:47], v[102:103] op_sel:[0,0,1] op_sel_hi:[1,0,0]
	v_pk_fma_f32 v[126:127], v[130:131], v[22:23], v[164:165] op_sel:[0,0,1] op_sel_hi:[1,1,0] neg_lo:[0,0,1] neg_hi:[0,0,1]
	v_mov_b32_e32 v135, v103
	s_waitcnt vmcnt(4) lgkmcnt(0)
	v_pk_mul_f32 v[102:103], v[138:139], v[226:227] op_sel:[0,1]
	v_pk_fma_f32 v[110:111], v[130:131], v[22:23], v[164:165] op_sel:[0,0,1] op_sel_hi:[1,0,0]
	v_pk_fma_f32 v[132:133], v[138:139], v[226:227], v[102:103] op_sel:[0,0,1] op_sel_hi:[1,1,0] neg_lo:[0,0,1] neg_hi:[0,0,1]
	v_pk_fma_f32 v[102:103], v[138:139], v[226:227], v[102:103] op_sel:[0,0,1] op_sel_hi:[1,0,0]
	v_pk_add_f32 v[98:99], v[98:99], v[154:155]
	v_pk_add_f32 v[130:131], v[104:105], v[168:169]
	v_mov_b32_e32 v133, v103
	v_pk_add_f32 v[102:103], v[94:95], v[114:115]
	v_mov_b32_e32 v127, v111
	v_pk_add_f32 v[110:111], v[92:93], v[124:125]
	v_pk_add_f32 v[158:159], v[130:131], v[98:99]
	;; [unrolled: 1-line block ×6, first 2 shown]
	ds_read2_b64 v[102:105], v150 offset0:48 offset1:64
	ds_read2_b64 v[110:113], v150 offset0:208 offset1:224
	;; [unrolled: 1-line block ×3, first 2 shown]
	ds_write_b64 v204, v[158:159]
	v_pk_add_f32 v[158:159], v[16:17], v[168:169]
	v_pk_add_f32 v[16:17], v[16:17], v[168:169] neg_lo:[0,1] neg_hi:[0,1]
	v_pk_add_f32 v[168:169], v[144:145], v[154:155]
	v_pk_add_f32 v[144:145], v[144:145], v[154:155] neg_lo:[0,1] neg_hi:[0,1]
	v_pk_fma_f32 v[168:169], v[168:169], 0.5, v[170:171] op_sel_hi:[1,0,1] neg_lo:[1,0,0] neg_hi:[1,0,0]
	v_pk_fma_f32 v[106:107], v[158:159], 0.5, v[106:107] op_sel_hi:[1,0,1] neg_lo:[1,0,0] neg_hi:[1,0,0]
	v_pk_mul_f32 v[16:17], v[16:17], s[2:3] op_sel_hi:[1,0]
	v_pk_fma_f32 v[154:155], v[144:145], s[2:3], v[168:169] op_sel:[0,0,1] op_sel_hi:[1,0,0]
	v_pk_fma_f32 v[144:145], v[144:145], s[2:3], v[168:169] op_sel:[0,0,1] op_sel_hi:[1,0,0] neg_lo:[1,0,0] neg_hi:[1,0,0]
	v_pk_add_f32 v[158:159], v[16:17], v[106:107] op_sel:[1,0] op_sel_hi:[0,1]
	v_pk_add_f32 v[16:17], v[106:107], v[16:17] op_sel:[0,1] op_sel_hi:[1,0] neg_lo:[0,1] neg_hi:[0,1]
	v_mov_b32_e32 v168, v154
	v_mov_b32_e32 v169, v145
	v_mul_f32_e32 v109, 0xbf5db3d7, v155
	v_mov_b32_e32 v106, v16
	v_mul_f32_e32 v16, 0x3f5db3d7, v144
	v_fmac_f32_e32 v109, 0.5, v144
	v_pk_mul_f32 v[144:145], v[168:169], 0.5 op_sel_hi:[1,0]
	v_pk_add_f32 v[98:99], v[130:131], v[98:99] neg_lo:[0,1] neg_hi:[0,1]
	v_pk_add_f32 v[130:131], v[124:125], v[126:127]
	v_mov_b32_e32 v107, v159
	v_pk_fma_f32 v[144:145], v[168:169], s[2:3], v[144:145] op_sel:[0,0,1] op_sel_hi:[1,1,0] neg_lo:[0,0,1] neg_hi:[0,0,1]
	v_pk_fma_f32 v[92:93], v[130:131], 0.5, v[92:93] op_sel_hi:[1,0,1] neg_lo:[1,0,0] neg_hi:[1,0,0]
	v_pk_add_f32 v[124:125], v[124:125], v[126:127] neg_lo:[0,1] neg_hi:[0,1]
	v_pk_add_f32 v[130:131], v[160:161], v[166:167]
	s_waitcnt vmcnt(3)
	v_pk_mul_f32 v[182:183], v[116:117], v[80:81] op_sel:[0,1]
	v_pk_add_f32 v[168:169], v[106:107], v[144:145]
	v_pk_add_f32 v[106:107], v[106:107], v[144:145] neg_lo:[0,1] neg_hi:[0,1]
	v_pk_mul_f32 v[124:125], v[124:125], s[2:3] op_sel_hi:[1,0]
	v_pk_fma_f32 v[130:131], v[130:131], 0.5, v[156:157] op_sel_hi:[1,0,1] neg_lo:[1,0,0] neg_hi:[1,0,0]
	v_pk_add_f32 v[144:145], v[160:161], v[166:167] neg_lo:[0,1] neg_hi:[0,1]
	v_pk_fma_f32 v[184:185], v[116:117], v[80:81], v[182:183] op_sel:[0,0,1] op_sel_hi:[1,1,0] neg_lo:[0,0,1] neg_hi:[0,0,1]
	v_pk_fma_f32 v[116:117], v[116:117], v[80:81], v[182:183] op_sel:[0,0,1] op_sel_hi:[1,0,0]
	v_pk_add_f32 v[126:127], v[124:125], v[92:93] op_sel:[1,0] op_sel_hi:[0,1]
	v_pk_add_f32 v[92:93], v[92:93], v[124:125] op_sel:[0,1] op_sel_hi:[1,0] neg_lo:[0,1] neg_hi:[0,1]
	v_pk_fma_f32 v[156:157], v[144:145], s[2:3], v[130:131] op_sel:[0,0,1] op_sel_hi:[1,0,0]
	v_pk_fma_f32 v[130:131], v[144:145], s[2:3], v[130:131] op_sel:[0,0,1] op_sel_hi:[1,0,0] neg_lo:[1,0,0] neg_hi:[1,0,0]
	v_mov_b32_e32 v116, v83
	v_fmac_f32_e32 v16, 0.5, v155
	v_add_f32_e32 v155, v17, v109
	v_sub_f32_e32 v17, v17, v109
	v_mov_b32_e32 v124, v92
	v_mov_b32_e32 v144, v156
	;; [unrolled: 1-line block ×3, first 2 shown]
	v_mul_f32_e32 v92, 0x3f5db3d7, v130
	v_mul_f32_e32 v109, 0xbf5db3d7, v157
	v_mov_b32_e32 v185, v117
	s_waitcnt lgkmcnt(2)
	v_pk_mul_f32 v[116:117], v[110:111], v[116:117] op_sel_hi:[1,0]
	v_fmac_f32_e32 v92, 0.5, v157
	v_fmac_f32_e32 v109, 0.5, v130
	v_pk_mul_f32 v[130:131], v[144:145], 0.5 op_sel_hi:[1,0]
	v_pk_fma_f32 v[182:183], v[110:111], v[82:83], v[116:117] op_sel:[0,0,1] op_sel_hi:[1,1,0] neg_lo:[0,0,1] neg_hi:[0,0,1]
	v_pk_fma_f32 v[110:111], v[110:111], v[82:83], v[116:117] op_sel:[0,0,1] op_sel_hi:[1,0,0]
	v_mov_b32_e32 v125, v127
	v_add_f32_e32 v156, v126, v92
	v_pk_fma_f32 v[130:131], v[144:145], s[2:3], v[130:131] op_sel:[0,0,1] op_sel_hi:[1,1,0] neg_lo:[0,0,1] neg_hi:[0,0,1]
	v_sub_f32_e32 v92, v126, v92
	v_pk_add_f32 v[126:127], v[152:153], v[128:129] neg_lo:[0,1] neg_hi:[0,1]
	v_mov_b32_e32 v183, v111
	v_pk_mul_f32 v[110:111], v[136:137], v[76:77] op_sel:[0,1]
	v_add_f32_e32 v154, v158, v16
	v_add_f32_e32 v157, v93, v109
	ds_write2_b64 v19, v[98:99], v[126:127] offset0:112 offset1:128
	v_pk_add_f32 v[98:99], v[124:125], v[130:131] neg_lo:[0,1] neg_hi:[0,1]
	v_pk_add_f32 v[164:165], v[152:153], v[128:129]
	v_pk_add_f32 v[180:181], v[138:139], v[178:179]
	v_pk_fma_f32 v[116:117], v[136:137], v[76:77], v[110:111] op_sel:[0,0,1] op_sel_hi:[1,1,0] neg_lo:[0,0,1] neg_hi:[0,0,1]
	v_pk_fma_f32 v[110:111], v[136:137], v[76:77], v[110:111] op_sel:[0,0,1] op_sel_hi:[1,0,0]
	s_waitcnt vmcnt(0)
	v_pk_mul_f32 v[190:191], v[96:97], v[72:73] op_sel:[0,1]
	ds_write2_b64 v150, v[154:155], v[156:157] offset0:80 offset1:96
	ds_write2_b64 v18, v[106:107], v[98:99] offset0:144 offset1:160
	;; [unrolled: 1-line block ×3, first 2 shown]
	v_pk_add_f32 v[98:99], v[114:115], v[134:135]
	v_mov_b32_e32 v110, v79
	v_pk_fma_f32 v[192:193], v[96:97], v[72:73], v[190:191] op_sel:[0,0,1] op_sel_hi:[1,1,0] neg_lo:[0,0,1] neg_hi:[0,0,1]
	v_pk_fma_f32 v[96:97], v[96:97], v[72:73], v[190:191] op_sel:[0,0,1] op_sel_hi:[1,0,0]
	v_pk_fma_f32 v[94:95], v[98:99], 0.5, v[94:95] op_sel_hi:[1,0,1] neg_lo:[1,0,0] neg_hi:[1,0,0]
	v_pk_add_f32 v[98:99], v[114:115], v[134:135] neg_lo:[0,1] neg_hi:[0,1]
	v_pk_add_f32 v[114:115], v[176:177], v[132:133]
	v_mov_b32_e32 v117, v111
	s_waitcnt lgkmcnt(5)
	v_pk_mul_f32 v[110:111], v[118:119], v[110:111] op_sel_hi:[1,0]
	v_mov_b32_e32 v96, v75
	v_pk_add_f32 v[144:145], v[124:125], v[130:131]
	v_pk_mul_f32 v[98:99], v[98:99], s[2:3] op_sel_hi:[1,0]
	v_pk_fma_f32 v[114:115], v[114:115], 0.5, v[174:175] op_sel_hi:[1,0,1] neg_lo:[1,0,0] neg_hi:[1,0,0]
	v_pk_add_f32 v[124:125], v[176:177], v[132:133] neg_lo:[0,1] neg_hi:[0,1]
	v_pk_fma_f32 v[136:137], v[118:119], v[78:79], v[110:111] op_sel:[0,0,1] op_sel_hi:[1,1,0] neg_lo:[0,0,1] neg_hi:[0,0,1]
	v_pk_fma_f32 v[110:111], v[118:119], v[78:79], v[110:111] op_sel:[0,0,1] op_sel_hi:[1,0,0]
	v_mov_b32_e32 v193, v97
	v_pk_mul_f32 v[96:97], v[112:113], v[96:97] op_sel_hi:[1,0]
	v_pk_add_f32 v[106:107], v[98:99], v[94:95] op_sel:[1,0] op_sel_hi:[0,1]
	v_pk_add_f32 v[94:95], v[94:95], v[98:99] op_sel:[0,1] op_sel_hi:[1,0] neg_lo:[0,1] neg_hi:[0,1]
	v_pk_fma_f32 v[126:127], v[124:125], s[2:3], v[114:115] op_sel:[0,0,1] op_sel_hi:[1,0,0]
	v_pk_fma_f32 v[114:115], v[124:125], s[2:3], v[114:115] op_sel:[0,0,1] op_sel_hi:[1,0,0] neg_lo:[1,0,0] neg_hi:[1,0,0]
	v_mov_b32_e32 v137, v111
	v_pk_mul_f32 v[110:111], v[140:141], v[224:225] op_sel:[0,1]
	v_pk_fma_f32 v[190:191], v[112:113], v[74:75], v[96:97] op_sel:[0,0,1] op_sel_hi:[1,1,0] neg_lo:[0,0,1] neg_hi:[0,0,1]
	v_pk_fma_f32 v[96:97], v[112:113], v[74:75], v[96:97] op_sel:[0,0,1] op_sel_hi:[1,0,0]
	v_mov_b32_e32 v98, v94
	v_mov_b32_e32 v99, v107
	;; [unrolled: 1-line block ×4, first 2 shown]
	v_mul_f32_e32 v94, 0x3f5db3d7, v114
	v_mul_f32_e32 v107, 0xbf5db3d7, v127
	v_pk_fma_f32 v[118:119], v[140:141], v[224:225], v[110:111] op_sel:[0,0,1] op_sel_hi:[1,1,0] neg_lo:[0,0,1] neg_hi:[0,0,1]
	v_pk_fma_f32 v[110:111], v[140:141], v[224:225], v[110:111] op_sel:[0,0,1] op_sel_hi:[1,0,0]
	v_mov_b32_e32 v191, v97
	v_pk_mul_f32 v[96:97], v[122:123], v[68:69] op_sel:[0,1]
	v_fmac_f32_e32 v94, 0.5, v127
	v_fmac_f32_e32 v107, 0.5, v114
	v_pk_mul_f32 v[114:115], v[124:125], 0.5 op_sel_hi:[1,0]
	v_mov_b32_e32 v119, v111
	v_pk_fma_f32 v[112:113], v[122:123], v[68:69], v[96:97] op_sel:[0,0,1] op_sel_hi:[1,1,0] neg_lo:[0,0,1] neg_hi:[0,0,1]
	v_pk_fma_f32 v[96:97], v[122:123], v[68:69], v[96:97] op_sel:[0,0,1] op_sel_hi:[1,0,0]
	v_sub_f32_e32 v93, v93, v109
	v_add_f32_e32 v126, v106, v94
	v_add_f32_e32 v127, v95, v107
	v_pk_fma_f32 v[114:115], v[124:125], s[2:3], v[114:115] op_sel:[0,0,1] op_sel_hi:[1,1,0] neg_lo:[0,0,1] neg_hi:[0,0,1]
	v_sub_f32_e32 v94, v106, v94
	v_sub_f32_e32 v95, v95, v107
	v_mov_b32_e32 v96, v71
	v_pk_add_f32 v[124:125], v[98:99], v[114:115]
	ds_write2_b64 v18, v[92:93], v[94:95] offset0:80 offset1:96
	v_pk_add_f32 v[92:93], v[98:99], v[114:115] neg_lo:[0,1] neg_hi:[0,1]
	v_pk_add_f32 v[94:95], v[182:183], v[136:137]
	v_pk_add_f32 v[98:99], v[182:183], v[136:137] neg_lo:[0,1] neg_hi:[0,1]
	v_pk_add_f32 v[114:115], v[116:117], v[118:119]
	v_pk_add_f32 v[140:141], v[184:185], v[116:117]
	v_mov_b32_e32 v113, v97
	v_pk_mul_f32 v[96:97], v[120:121], v[96:97] op_sel_hi:[1,0]
	v_pk_fma_f32 v[94:95], v[94:95], 0.5, v[102:103] op_sel_hi:[1,0,1] neg_lo:[1,0,0] neg_hi:[1,0,0]
	v_pk_mul_f32 v[98:99], v[98:99], s[2:3] op_sel_hi:[1,0]
	v_pk_fma_f32 v[114:115], v[114:115], 0.5, v[184:185] op_sel_hi:[1,0,1] neg_lo:[1,0,0] neg_hi:[1,0,0]
	v_pk_add_f32 v[116:117], v[116:117], v[118:119] neg_lo:[0,1] neg_hi:[0,1]
	v_pk_add_f32 v[110:111], v[102:103], v[182:183]
	v_pk_add_f32 v[140:141], v[140:141], v[118:119]
	v_pk_fma_f32 v[122:123], v[120:121], v[70:71], v[96:97] op_sel:[0,0,1] op_sel_hi:[1,1,0] neg_lo:[0,0,1] neg_hi:[0,0,1]
	v_pk_fma_f32 v[96:97], v[120:121], v[70:71], v[96:97] op_sel:[0,0,1] op_sel_hi:[1,0,0]
	v_pk_add_f32 v[102:103], v[98:99], v[94:95] op_sel:[1,0] op_sel_hi:[0,1]
	v_pk_fma_f32 v[118:119], v[116:117], s[2:3], v[114:115] op_sel:[0,0,1] op_sel_hi:[1,0,0]
	v_pk_fma_f32 v[114:115], v[116:117], s[2:3], v[114:115] op_sel:[0,0,1] op_sel_hi:[1,0,0] neg_lo:[1,0,0] neg_hi:[1,0,0]
	v_mov_b32_e32 v123, v97
	v_pk_mul_f32 v[96:97], v[142:143], v[194:195] op_sel:[0,1]
	v_pk_add_f32 v[94:95], v[94:95], v[98:99] op_sel:[0,1] op_sel_hi:[1,0] neg_lo:[0,1] neg_hi:[0,1]
	v_mov_b32_e32 v99, v103
	v_mov_b32_e32 v116, v118
	;; [unrolled: 1-line block ×3, first 2 shown]
	v_mul_f32_e32 v103, 0xbf5db3d7, v119
	v_pk_fma_f32 v[120:121], v[142:143], v[194:195], v[96:97] op_sel:[0,0,1] op_sel_hi:[1,1,0] neg_lo:[0,0,1] neg_hi:[0,0,1]
	v_pk_fma_f32 v[96:97], v[142:143], v[194:195], v[96:97] op_sel:[0,0,1] op_sel_hi:[1,0,0]
	v_mov_b32_e32 v98, v94
	v_mul_f32_e32 v94, 0x3f5db3d7, v114
	v_fmac_f32_e32 v103, 0.5, v114
	v_pk_mul_f32 v[114:115], v[116:117], 0.5 op_sel_hi:[1,0]
	v_pk_add_f32 v[110:111], v[110:111], v[136:137]
	v_mov_b32_e32 v121, v97
	v_pk_add_f32 v[96:97], v[104:105], v[190:191]
	v_pk_add_f32 v[142:143], v[192:193], v[112:113]
	v_fmac_f32_e32 v94, 0.5, v119
	v_pk_fma_f32 v[114:115], v[116:117], s[2:3], v[114:115] op_sel:[0,0,1] op_sel_hi:[1,1,0] neg_lo:[0,0,1] neg_hi:[0,0,1]
	v_accvgpr_write_b32 a74, v194
	v_pk_add_f32 v[96:97], v[96:97], v[122:123]
	v_pk_add_f32 v[142:143], v[142:143], v[120:121]
	v_pk_add_f32 v[106:107], v[138:139], v[178:179] neg_lo:[0,1] neg_hi:[0,1]
	v_add_f32_e32 v118, v102, v94
	v_add_f32_e32 v119, v95, v103
	v_pk_add_f32 v[116:117], v[98:99], v[114:115]
	v_sub_f32_e32 v94, v102, v94
	v_sub_f32_e32 v95, v95, v103
	v_pk_add_f32 v[102:103], v[110:111], v[140:141] neg_lo:[0,1] neg_hi:[0,1]
	v_pk_add_f32 v[98:99], v[98:99], v[114:115] neg_lo:[0,1] neg_hi:[0,1]
	v_pk_add_f32 v[186:187], v[110:111], v[140:141]
	v_accvgpr_write_b32 a75, v195
	v_pk_add_f32 v[194:195], v[96:97], v[142:143]
	ds_write2_b64 v150, v[144:145], v[124:125] offset0:176 offset1:192
	ds_write2_b64 v150, v[126:127], v[118:119] offset0:112 offset1:128
	;; [unrolled: 1-line block ×5, first 2 shown]
	v_pk_add_f32 v[92:93], v[190:191], v[122:123]
	v_pk_add_f32 v[98:99], v[190:191], v[122:123] neg_lo:[0,1] neg_hi:[0,1]
	v_pk_fma_f32 v[92:93], v[92:93], 0.5, v[104:105] op_sel_hi:[1,0,1] neg_lo:[1,0,0] neg_hi:[1,0,0]
	v_pk_add_f32 v[104:105], v[112:113], v[120:121]
	v_pk_mul_f32 v[98:99], v[98:99], s[2:3] op_sel_hi:[1,0]
	v_pk_fma_f32 v[104:105], v[104:105], 0.5, v[192:193] op_sel_hi:[1,0,1] neg_lo:[1,0,0] neg_hi:[1,0,0]
	v_pk_add_f32 v[106:107], v[112:113], v[120:121] neg_lo:[0,1] neg_hi:[0,1]
	v_pk_add_f32 v[102:103], v[98:99], v[92:93] op_sel:[1,0] op_sel_hi:[0,1]
	v_pk_add_f32 v[92:93], v[92:93], v[98:99] op_sel:[0,1] op_sel_hi:[1,0] neg_lo:[0,1] neg_hi:[0,1]
	v_pk_fma_f32 v[110:111], v[106:107], s[2:3], v[104:105] op_sel:[0,0,1] op_sel_hi:[1,0,0]
	v_pk_fma_f32 v[104:105], v[106:107], s[2:3], v[104:105] op_sel:[0,0,1] op_sel_hi:[1,0,0] neg_lo:[1,0,0] neg_hi:[1,0,0]
	v_mov_b32_e32 v98, v92
	v_mov_b32_e32 v99, v103
	;; [unrolled: 1-line block ×4, first 2 shown]
	v_mul_f32_e32 v92, 0x3f5db3d7, v104
	v_mul_f32_e32 v103, 0xbf5db3d7, v111
	v_fmac_f32_e32 v92, 0.5, v111
	v_fmac_f32_e32 v103, 0.5, v104
	v_pk_mul_f32 v[104:105], v[106:107], 0.5 op_sel_hi:[1,0]
	v_sub_f32_e32 v16, v158, v16
	v_add_f32_e32 v110, v102, v92
	v_add_f32_e32 v111, v93, v103
	v_pk_fma_f32 v[104:105], v[106:107], s[2:3], v[104:105] op_sel:[0,0,1] op_sel_hi:[1,1,0] neg_lo:[0,0,1] neg_hi:[0,0,1]
	v_pk_add_f32 v[96:97], v[96:97], v[142:143] neg_lo:[0,1] neg_hi:[0,1]
	v_pk_add_f32 v[106:107], v[98:99], v[104:105]
	v_sub_f32_e32 v92, v102, v92
	v_sub_f32_e32 v93, v93, v103
	ds_write2_b64 v150, v[110:111], v[168:169] offset0:144 offset1:160
	ds_write2_b64 v150, v[116:117], v[106:107] offset0:208 offset1:224
	ds_write2_b64 v18, v[96:97], v[16:17] offset0:48 offset1:64
	ds_write2_b64 v18, v[94:95], v[92:93] offset0:112 offset1:128
	v_pk_add_f32 v[16:17], v[98:99], v[104:105] neg_lo:[0,1] neg_hi:[0,1]
	ds_write_b64 v150, v[16:17] offset:3712
	s_waitcnt lgkmcnt(0)
	; wave barrier
	s_waitcnt lgkmcnt(0)
	global_load_dwordx2 v[16:17], v[100:101], off offset:3840
	s_add_u32 s2, s8, 0xf00
	s_addc_u32 s3, s9, 0
	global_load_dwordx2 v[100:101], v108, s[2:3] offset:384
	global_load_dwordx2 v[104:105], v108, s[2:3] offset:768
	;; [unrolled: 1-line block ×13, first 2 shown]
	ds_read_b64 v[92:93], v204
	s_mov_b32 s8, 0x3e9e377a
	s_mov_b32 s20, s8
	s_waitcnt vmcnt(13) lgkmcnt(0)
	v_mul_f32_e32 v94, v93, v17
	v_mul_f32_e32 v95, v92, v17
	v_fma_f32 v94, v92, v16, -v94
	v_fmac_f32_e32 v95, v93, v16
	ds_write_b64 v204, v[94:95]
	ds_read2_b64 v[92:95], v150 offset0:48 offset1:64
	global_load_dwordx2 v[16:17], v108, s[2:3] offset:1664
	global_load_dwordx2 v[136:137], v108, s[2:3] offset:256
	;; [unrolled: 1-line block ×3, first 2 shown]
	s_waitcnt vmcnt(15) lgkmcnt(0)
	v_mul_f32_e32 v96, v93, v101
	v_fma_f32 v138, v92, v100, -v96
	ds_read2_b64 v[96:99], v150 offset0:80 offset1:96
	v_mul_f32_e32 v139, v92, v101
	v_fmac_f32_e32 v139, v93, v100
	global_load_dwordx2 v[142:143], v108, s[2:3] offset:1024
	global_load_dwordx2 v[144:145], v108, s[2:3] offset:640
	ds_read2_b64 v[100:103], v150 offset0:144 offset1:160
	s_waitcnt vmcnt(16) lgkmcnt(1)
	v_mul_f32_e32 v92, v99, v105
	v_mul_f32_e32 v155, v98, v105
	v_fma_f32 v154, v98, v104, -v92
	v_fmac_f32_e32 v155, v99, v104
	ds_read2_b64 v[104:107], v150 offset0:176 offset1:192
	s_waitcnt vmcnt(15) lgkmcnt(1)
	v_mul_f32_e32 v92, v101, v111
	v_mul_f32_e32 v161, v100, v111
	global_load_dwordx2 v[152:153], v108, s[2:3] offset:2432
	global_load_dwordx2 v[156:157], v108, s[2:3] offset:2816
	v_fma_f32 v160, v100, v110, -v92
	v_fmac_f32_e32 v161, v101, v110
	ds_read2_b64 v[98:101], v19 offset0:112 offset1:128
	global_load_dwordx2 v[164:165], v108, s[2:3] offset:3200
	global_load_dwordx2 v[166:167], v108, s[2:3] offset:3584
	s_waitcnt vmcnt(18) lgkmcnt(1)
	v_mul_f32_e32 v92, v107, v113
	v_mul_f32_e32 v169, v106, v113
	v_fma_f32 v168, v106, v112, -v92
	v_fmac_f32_e32 v169, v107, v112
	ds_read2_b64 v[110:113], v18 offset0:16 offset1:32
	s_waitcnt vmcnt(17) lgkmcnt(1)
	v_mul_f32_e32 v92, v99, v115
	v_mul_f32_e32 v175, v98, v115
	global_load_dwordx2 v[158:159], v108, s[2:3] offset:1408
	global_load_dwordx2 v[170:171], v108, s[2:3] offset:1792
	v_fma_f32 v174, v98, v114, -v92
	v_fmac_f32_e32 v175, v99, v114
	global_load_dwordx2 v[176:177], v108, s[2:3] offset:2560
	global_load_dwordx2 v[178:179], v108, s[2:3] offset:2176
	ds_read2_b64 v[114:117], v18 offset0:80 offset1:96
	s_waitcnt vmcnt(20) lgkmcnt(1)
	v_mul_f32_e32 v92, v113, v119
	v_mul_f32_e32 v181, v112, v119
	v_fma_f32 v180, v112, v118, -v92
	v_fmac_f32_e32 v181, v113, v118
	ds_read2_b64 v[118:121], v18 offset0:112 offset1:128
	s_waitcnt vmcnt(19) lgkmcnt(1)
	v_mul_f32_e32 v92, v115, v123
	v_mul_f32_e32 v185, v114, v123
	v_fma_f32 v184, v114, v122, -v92
	v_fmac_f32_e32 v185, v115, v122
	ds_read2_b64 v[112:115], v18 offset0:176 offset1:192
	s_waitcnt vmcnt(18) lgkmcnt(1)
	v_mul_f32_e32 v92, v121, v125
	v_mul_f32_e32 v187, v120, v125
	v_fma_f32 v186, v120, v124, -v92
	v_fmac_f32_e32 v187, v121, v124
	ds_read2_b64 v[120:123], v150 offset0:16 offset1:32
	global_load_dwordx2 v[182:183], v108, s[2:3] offset:2944
	global_load_dwordx2 v[190:191], v108, s[2:3] offset:3328
	s_waitcnt vmcnt(19) lgkmcnt(1)
	v_mul_f32_e32 v92, v113, v127
	v_mul_f32_e32 v193, v112, v127
	v_fma_f32 v192, v112, v126, -v92
	v_fmac_f32_e32 v193, v113, v126
	ds_read2_b64 v[124:127], v150 offset0:112 offset1:128
	s_waitcnt vmcnt(18) lgkmcnt(1)
	v_mul_f32_e32 v92, v121, v129
	v_fma_f32 v112, v120, v128, -v92
	s_waitcnt vmcnt(17)
	v_mul_f32_e32 v92, v95, v131
	v_mul_f32_e32 v93, v94, v131
	;; [unrolled: 1-line block ×3, first 2 shown]
	v_fma_f32 v92, v94, v130, -v92
	v_fmac_f32_e32 v93, v95, v130
	v_fmac_f32_e32 v113, v121, v128
	ds_write2_b64 v150, v[138:139], v[92:93] offset0:48 offset1:64
	s_waitcnt vmcnt(16) lgkmcnt(1)
	v_mul_f32_e32 v92, v125, v133
	v_mul_f32_e32 v121, v124, v133
	v_fma_f32 v120, v124, v132, -v92
	v_fmac_f32_e32 v121, v125, v132
	global_load_dwordx2 v[124:125], v108, s[2:3] offset:3712
	ds_read2_b64 v[92:95], v150 offset0:208 offset1:224
	s_waitcnt vmcnt(16)
	v_mul_f32_e32 v98, v103, v135
	v_mul_f32_e32 v99, v102, v135
	v_fma_f32 v98, v102, v134, -v98
	v_fmac_f32_e32 v99, v103, v134
	ds_write2_b64 v150, v[160:161], v[98:99] offset0:144 offset1:160
	s_waitcnt vmcnt(15) lgkmcnt(1)
	v_mul_f32_e32 v98, v93, v17
	v_mul_f32_e32 v103, v92, v17
	v_fma_f32 v102, v92, v16, -v98
	v_fmac_f32_e32 v103, v93, v16
	s_waitcnt vmcnt(13)
	v_mul_f32_e32 v16, v101, v141
	v_mul_f32_e32 v17, v100, v141
	v_fma_f32 v16, v100, v140, -v16
	v_fmac_f32_e32 v17, v101, v140
	ds_read2_b64 v[98:101], v18 offset0:144 offset1:160
	ds_read2_b64 v[106:109], v18 offset0:48 offset1:64
	ds_write2_b64 v19, v[174:175], v[16:17] offset0:112 offset1:128
	s_mov_b32 s2, 0x3f167918
	s_mov_b32 s13, s2
	s_waitcnt vmcnt(10) lgkmcnt(1)
	v_mul_f32_e32 v16, v107, v153
	s_waitcnt vmcnt(9)
	v_mul_f32_e32 v92, v117, v157
	v_mul_f32_e32 v93, v116, v157
	v_fma_f32 v92, v116, v156, -v92
	v_fmac_f32_e32 v93, v117, v156
	ds_write2_b64 v18, v[184:185], v[92:93] offset0:80 offset1:96
	s_waitcnt vmcnt(8)
	v_mul_f32_e32 v92, v99, v165
	v_mul_f32_e32 v93, v98, v165
	v_fma_f32 v92, v98, v164, -v92
	v_fmac_f32_e32 v93, v99, v164
	s_waitcnt vmcnt(7)
	v_mul_f32_e32 v98, v115, v167
	v_mul_f32_e32 v99, v114, v167
	v_fma_f32 v98, v114, v166, -v98
	v_fmac_f32_e32 v99, v115, v166
	ds_write2_b64 v18, v[192:193], v[98:99] offset0:176 offset1:192
	v_mul_f32_e32 v98, v123, v137
	v_mul_f32_e32 v99, v122, v137
	v_fma_f32 v98, v122, v136, -v98
	v_fmac_f32_e32 v99, v123, v136
	ds_write2_b64 v150, v[112:113], v[98:99] offset0:16 offset1:32
	v_mul_f32_e32 v98, v97, v145
	v_mul_f32_e32 v99, v96, v145
	v_fma_f32 v98, v96, v144, -v98
	v_fmac_f32_e32 v99, v97, v144
	v_mul_f32_e32 v96, v127, v143
	v_mul_f32_e32 v97, v126, v143
	v_fma_f32 v96, v126, v142, -v96
	v_fmac_f32_e32 v97, v127, v142
	ds_write2_b64 v150, v[120:121], v[96:97] offset0:112 offset1:128
	s_waitcnt vmcnt(6)
	v_mul_f32_e32 v96, v105, v159
	v_mul_f32_e32 v97, v104, v159
	v_fma_f32 v96, v104, v158, -v96
	v_fmac_f32_e32 v97, v105, v158
	ds_write2_b64 v150, v[96:97], v[168:169] offset0:176 offset1:192
	s_waitcnt vmcnt(5)
	v_mul_f32_e32 v96, v95, v171
	v_mul_f32_e32 v97, v94, v171
	v_fma_f32 v96, v94, v170, -v96
	v_fmac_f32_e32 v97, v95, v170
	s_waitcnt vmcnt(3)
	v_mul_f32_e32 v94, v111, v179
	v_mul_f32_e32 v95, v110, v179
	v_fma_f32 v94, v110, v178, -v94
	v_fmac_f32_e32 v95, v111, v178
	v_mul_f32_e32 v17, v106, v153
	ds_write2_b64 v18, v[94:95], v[180:181] offset0:16 offset1:32
	v_mul_f32_e32 v94, v109, v177
	v_mul_f32_e32 v95, v108, v177
	v_fma_f32 v16, v106, v152, -v16
	v_fmac_f32_e32 v17, v107, v152
	v_fma_f32 v94, v108, v176, -v94
	v_fmac_f32_e32 v95, v109, v176
	ds_write2_b64 v18, v[16:17], v[94:95] offset0:48 offset1:64
	s_waitcnt vmcnt(2)
	v_mul_f32_e32 v16, v119, v183
	v_mul_f32_e32 v17, v118, v183
	v_fma_f32 v16, v118, v182, -v16
	v_fmac_f32_e32 v17, v119, v182
	ds_write2_b64 v18, v[16:17], v[186:187] offset0:112 offset1:128
	ds_read_b64 v[16:17], v150 offset:3712
	s_waitcnt vmcnt(1)
	v_mul_f32_e32 v94, v101, v191
	v_mul_f32_e32 v95, v100, v191
	v_fma_f32 v94, v100, v190, -v94
	v_fmac_f32_e32 v95, v101, v190
	ds_write2_b64 v18, v[92:93], v[94:95] offset0:144 offset1:160
	s_waitcnt vmcnt(0) lgkmcnt(1)
	v_mul_f32_e32 v92, v17, v125
	v_mul_f32_e32 v93, v16, v125
	v_fma_f32 v92, v16, v124, -v92
	v_fmac_f32_e32 v93, v17, v124
	ds_write2_b64 v150, v[98:99], v[154:155] offset0:80 offset1:96
	ds_write2_b64 v150, v[102:103], v[96:97] offset0:208 offset1:224
	ds_write_b64 v150, v[92:93] offset:3712
	s_waitcnt lgkmcnt(0)
	; wave barrier
	s_waitcnt lgkmcnt(0)
	ds_read2_b64 v[104:107], v150 offset0:112 offset1:128
	ds_read2_b64 v[108:111], v150 offset0:208 offset1:224
	;; [unrolled: 1-line block ×5, first 2 shown]
	s_waitcnt lgkmcnt(3)
	v_pk_add_f32 v[100:101], v[110:111], v[106:107] neg_lo:[0,1] neg_hi:[0,1]
	s_waitcnt lgkmcnt(2)
	v_pk_add_f32 v[16:17], v[106:107], v[114:115]
	s_waitcnt lgkmcnt(1)
	v_pk_add_f32 v[94:95], v[110:111], v[118:119] neg_lo:[0,1] neg_hi:[0,1]
	v_pk_add_f32 v[92:93], v[106:107], v[114:115] neg_lo:[0,1] neg_hi:[0,1]
	s_waitcnt lgkmcnt(0)
	v_pk_fma_f32 v[16:17], v[16:17], 0.5, v[122:123] op_sel_hi:[1,0,1] neg_lo:[1,0,0] neg_hi:[1,0,0]
	v_pk_mul_f32 v[96:97], v[94:95], s[10:11] op_sel_hi:[1,0]
	v_pk_mul_f32 v[98:99], v[92:93], s[2:3] op_sel_hi:[1,0]
	v_pk_add_f32 v[124:125], v[16:17], v[96:97] op_sel:[0,1] op_sel_hi:[1,0] neg_lo:[0,1] neg_hi:[0,1]
	v_pk_add_f32 v[16:17], v[16:17], v[96:97] op_sel:[0,1] op_sel_hi:[1,0]
	v_pk_add_f32 v[102:103], v[118:119], v[114:115] neg_lo:[0,1] neg_hi:[0,1]
	v_pk_add_f32 v[96:97], v[16:17], v[98:99] op_sel:[0,1] op_sel_hi:[1,0] neg_lo:[0,1] neg_hi:[0,1]
	v_pk_add_f32 v[98:99], v[124:125], v[98:99] op_sel:[0,1] op_sel_hi:[1,0]
	ds_read2_b64 v[124:127], v18 offset0:16 offset1:32
	ds_read2_b64 v[128:131], v18 offset0:112 offset1:128
	;; [unrolled: 1-line block ×4, first 2 shown]
	ds_read_b64 v[152:153], v150 offset:3712
	v_pk_add_f32 v[102:103], v[100:101], v[102:103]
	v_pk_add_f32 v[100:101], v[106:107], v[110:111] neg_lo:[0,1] neg_hi:[0,1]
	v_pk_add_f32 v[140:141], v[114:115], v[118:119] neg_lo:[0,1] neg_hi:[0,1]
	s_waitcnt lgkmcnt(3)
	v_pk_add_f32 v[156:157], v[124:125], v[128:129] neg_lo:[0,1] neg_hi:[0,1]
	v_pk_add_f32 v[100:101], v[100:101], v[140:141]
	v_pk_add_f32 v[140:141], v[124:125], v[128:129]
	s_waitcnt lgkmcnt(0)
	v_pk_add_f32 v[142:143], v[136:137], v[152:153] neg_lo:[0,1] neg_hi:[0,1]
	v_pk_fma_f32 v[140:141], v[140:141], 0.5, v[132:133] op_sel_hi:[1,0,1] neg_lo:[1,0,0] neg_hi:[1,0,0]
	v_pk_mul_f32 v[144:145], v[142:143], s[10:11] op_sel_hi:[1,0]
	v_pk_mul_f32 v[158:159], v[156:157], s[2:3] op_sel_hi:[1,0]
	v_pk_add_f32 v[154:155], v[140:141], v[144:145] op_sel:[0,1] op_sel_hi:[1,0]
	v_pk_add_f32 v[164:165], v[136:137], v[124:125] neg_lo:[0,1] neg_hi:[0,1]
	v_pk_add_f32 v[166:167], v[152:153], v[128:129] neg_lo:[0,1] neg_hi:[0,1]
	v_mov_b32_e32 v170, v124
	v_mov_b32_e32 v171, v128
	;; [unrolled: 1-line block ×4, first 2 shown]
	v_pk_add_f32 v[140:141], v[140:141], v[144:145] op_sel:[0,1] op_sel_hi:[1,0] neg_lo:[0,1] neg_hi:[0,1]
	v_mov_b32_e32 v16, v98
	v_mov_b32_e32 v17, v97
	v_pk_add_f32 v[154:155], v[158:159], v[154:155] op_sel:[1,0] op_sel_hi:[0,1]
	v_pk_add_f32 v[164:165], v[164:165], v[166:167]
	v_pk_add_f32 v[170:171], v[170:171], v[174:175] neg_lo:[0,1] neg_hi:[0,1]
	v_pk_add_f32 v[140:141], v[140:141], v[158:159] op_sel:[0,1] op_sel_hi:[1,0] neg_lo:[0,1] neg_hi:[0,1]
	v_pk_fma_f32 v[16:17], v[102:103], s[8:9], v[16:17] op_sel_hi:[1,0,1]
	v_pk_fma_f32 v[166:167], v[164:165], s[8:9], v[154:155] op_sel_hi:[1,0,1]
	v_mov_b32_e32 v98, v171
	s_mov_b32 s9, s2
	v_mov_b32_e32 v154, v140
	v_pk_add_f32 v[168:169], v[136:137], v[152:153]
	v_pk_add_f32 v[170:171], v[170:171], v[98:99]
	v_pk_fma_f32 v[144:145], v[164:165], s[8:9], v[154:155] op_sel_hi:[1,0,1]
	v_pk_fma_f32 v[154:155], v[164:165], s[8:9], v[140:141] op_sel_hi:[1,0,1]
	v_mov_b32_e32 v140, v125
	v_mov_b32_e32 v141, v129
	;; [unrolled: 1-line block ×4, first 2 shown]
	v_fma_f32 v97, -0.5, v168, v132
	v_mov_b32_e32 v171, v143
	v_pk_add_f32 v[140:141], v[140:141], v[158:159] neg_lo:[0,1] neg_hi:[0,1]
	v_fmamk_f32 v149, v157, 0x3f737871, v97
	v_pk_mul_f32 v[170:171], v[170:171], s[8:9]
	v_fmac_f32_e32 v97, 0xbf737871, v157
	v_mov_b32_e32 v158, v141
	v_add_f32_e32 v97, v171, v97
	v_pk_add_f32 v[140:141], v[140:141], v[158:159]
	v_add_f32_e32 v168, v170, v97
	v_fma_f32 v97, -0.5, v169, v133
	v_mov_b32_e32 v141, v142
	v_fmamk_f32 v143, v156, 0xbf737871, v97
	v_pk_mul_f32 v[140:141], v[140:141], s[8:9]
	v_fmac_f32_e32 v97, 0x3f737871, v156
	v_add_f32_e32 v142, v141, v143
	v_sub_f32_e32 v97, v97, v141
	v_pk_mul_f32 v[156:157], v[144:145], s[2:3] op_sel_hi:[1,0]
	v_pk_mul_f32 v[94:95], v[94:95], s[2:3] op_sel_hi:[1,0]
	v_add_f32_e32 v158, v140, v142
	v_add_f32_e32 v142, v140, v97
	v_pk_fma_f32 v[140:141], v[144:145], s[18:19], v[156:157] op_sel:[0,0,1] op_sel_hi:[1,0,0] neg_lo:[0,0,1] neg_hi:[0,0,1]
	v_pk_fma_f32 v[144:145], v[144:145], s[18:19], v[156:157] op_sel:[0,0,1] op_sel_hi:[1,0,0]
	s_mov_b32 s3, s18
	v_mov_b32_e32 v141, v145
	v_pk_mul_f32 v[144:145], v[154:155], s[2:3] op_sel:[1,0]
	v_pk_mul_f32 v[92:93], v[92:93], s[10:11] op_sel_hi:[1,0]
	v_pk_fma_f32 v[154:155], v[166:167], s[12:13], v[144:145] op_sel_hi:[0,1,1] neg_lo:[0,0,1] neg_hi:[0,0,1]
	v_pk_add_f32 v[144:145], v[110:111], v[118:119]
	v_sub_f32_e32 v98, v149, v171
	v_pk_fma_f32 v[144:145], v[144:145], 0.5, v[122:123] op_sel_hi:[1,0,1] neg_lo:[1,0,0] neg_hi:[1,0,0]
	s_mov_b32 s11, s8
	v_pk_add_f32 v[156:157], v[144:145], v[92:93] op_sel:[0,1] op_sel_hi:[1,0]
	v_pk_add_f32 v[92:93], v[144:145], v[92:93] op_sel:[0,1] op_sel_hi:[1,0] neg_lo:[0,1] neg_hi:[0,1]
	v_pk_add_f32 v[156:157], v[156:157], v[94:95] op_sel:[0,1] op_sel_hi:[1,0]
	v_pk_add_f32 v[92:93], v[92:93], v[94:95] op_sel:[0,1] op_sel_hi:[1,0] neg_lo:[0,1] neg_hi:[0,1]
	v_mov_b32_e32 v95, v157
	v_mov_b32_e32 v94, v92
	v_pk_fma_f32 v[144:145], v[100:101], s[8:9], v[94:95] op_sel_hi:[1,0,1]
	v_pk_add_f32 v[94:95], v[122:123], v[106:107]
	v_mov_b32_e32 v157, v93
	v_pk_add_f32 v[94:95], v[94:95], v[110:111]
	ds_read_b64 v[160:161], v204
	v_pk_add_f32 v[94:95], v[94:95], v[118:119]
	v_add_f32_e32 v98, v170, v98
	v_pk_add_f32 v[110:111], v[94:95], v[114:115]
	v_pk_add_f32 v[94:95], v[132:133], v[136:137]
	v_pk_mul_f32 v[142:143], v[142:143], s[10:11] op_sel_hi:[0,1]
	v_pk_add_f32 v[94:95], v[94:95], v[124:125]
	v_pk_fma_f32 v[156:157], v[100:101], s[8:9], v[156:157] op_sel_hi:[1,0,1]
	v_pk_add_f32 v[94:95], v[94:95], v[128:129]
	v_pk_mul_f32 v[114:115], v[158:159], s[10:11] op_sel_hi:[0,1]
	v_pk_fma_f32 v[142:143], v[168:169], s[16:17], v[142:143] op_sel_hi:[0,1,1] neg_lo:[0,0,1] neg_hi:[0,0,1]
	v_pk_add_f32 v[92:93], v[156:157], v[154:155]
	v_pk_add_f32 v[118:119], v[94:95], v[152:153]
	v_pk_fma_f32 v[106:107], v[98:99], s[20:21], v[114:115] neg_lo:[0,0,1] neg_hi:[0,0,1]
	v_pk_fma_f32 v[114:115], v[98:99], s[20:21], v[114:115] op_sel_hi:[0,1,1]
	v_mov_b32_e32 v97, v99
	v_pk_add_f32 v[98:99], v[156:157], v[154:155] neg_lo:[0,1] neg_hi:[0,1]
	ds_read2_b64 v[122:125], v150 offset0:48 offset1:64
	ds_read2_b64 v[152:155], v150 offset0:144 offset1:160
	;; [unrolled: 1-line block ×5, first 2 shown]
	v_pk_add_f32 v[176:177], v[138:139], v[126:127]
	v_pk_add_f32 v[180:181], v[134:135], v[130:131] neg_lo:[0,1] neg_hi:[0,1]
	s_waitcnt lgkmcnt(5)
	v_pk_add_f32 v[128:129], v[160:161], v[134:135]
	v_pk_fma_f32 v[176:177], v[176:177], 0.5, v[160:161] op_sel_hi:[1,0,1] neg_lo:[1,0,0] neg_hi:[1,0,0]
	v_pk_mul_f32 v[182:183], v[180:181], s[10:11] op_sel_hi:[1,0]
	v_pk_add_f32 v[184:185], v[138:139], v[126:127] neg_lo:[0,1] neg_hi:[0,1]
	v_pk_add_f32 v[190:191], v[134:135], v[138:139] neg_lo:[0,1] neg_hi:[0,1]
	v_pk_add_f32 v[192:193], v[130:131], v[126:127] neg_lo:[0,1] neg_hi:[0,1]
	v_pk_add_f32 v[128:129], v[128:129], v[138:139]
	s_waitcnt lgkmcnt(2)
	v_mov_b32_e32 v136, v156
	s_waitcnt lgkmcnt(1)
	v_mov_b32_e32 v137, v164
	v_mov_b32_e32 v174, v152
	s_waitcnt lgkmcnt(0)
	v_mov_b32_e32 v175, v168
	v_pk_mul_f32 v[186:187], v[184:185], s[2:3] op_sel_hi:[1,0]
	v_pk_add_f32 v[190:191], v[190:191], v[192:193]
	v_pk_add_f32 v[192:193], v[176:177], v[182:183] op_sel:[0,1] op_sel_hi:[1,0] neg_lo:[0,1] neg_hi:[0,1]
	v_pk_add_f32 v[176:177], v[176:177], v[182:183] op_sel:[0,1] op_sel_hi:[1,0]
	v_pk_add_f32 v[128:129], v[128:129], v[126:127]
	v_pk_add_f32 v[136:137], v[136:137], v[174:175] neg_lo:[0,1] neg_hi:[0,1]
	v_pk_add_f32 v[174:175], v[122:123], v[152:153]
	v_pk_add_f32 v[182:183], v[176:177], v[186:187] op_sel:[0,1] op_sel_hi:[1,0]
	v_pk_add_f32 v[186:187], v[192:193], v[186:187] op_sel:[0,1] op_sel_hi:[1,0] neg_lo:[0,1] neg_hi:[0,1]
	v_pk_add_f32 v[132:133], v[128:129], v[130:131]
	v_pk_add_f32 v[128:129], v[152:153], v[168:169]
	;; [unrolled: 1-line block ×3, first 2 shown]
	v_mov_b32_e32 v176, v186
	v_mov_b32_e32 v177, v183
	v_fma_f32 v19, -0.5, v128, v122
	v_mov_b32_e32 v128, v137
	v_pk_add_f32 v[174:175], v[174:175], v[164:165]
	v_pk_fma_f32 v[192:193], v[190:191], s[8:9], v[176:177] op_sel_hi:[1,0,1]
	v_pk_add_f32 v[176:177], v[156:157], v[164:165]
	v_pk_add_f32 v[136:137], v[136:137], v[128:129]
	;; [unrolled: 1-line block ×3, first 2 shown]
	v_fma_f32 v149, -0.5, v129, v123
	v_mov_b32_e32 v128, v157
	v_mov_b32_e32 v129, v165
	;; [unrolled: 1-line block ×4, first 2 shown]
	v_pk_fma_f32 v[122:123], v[176:177], 0.5, v[122:123] op_sel_hi:[1,0,1] neg_lo:[1,0,0] neg_hi:[1,0,0]
	v_pk_add_f32 v[176:177], v[152:153], v[168:169] neg_lo:[0,1] neg_hi:[0,1]
	v_pk_add_f32 v[128:129], v[128:129], v[174:175] neg_lo:[0,1] neg_hi:[0,1]
	v_pk_mul_f32 v[194:195], v[176:177], s[10:11] op_sel_hi:[1,0]
	v_pk_add_f32 v[198:199], v[156:157], v[164:165] neg_lo:[0,1] neg_hi:[0,1]
	v_mov_b32_e32 v174, v129
	v_pk_add_f32 v[196:197], v[122:123], v[194:195] op_sel:[0,1] op_sel_hi:[1,0]
	v_pk_mul_f32 v[200:201], v[198:199], s[2:3] op_sel_hi:[1,0]
	v_pk_add_f32 v[152:153], v[152:153], v[156:157] neg_lo:[0,1] neg_hi:[0,1]
	v_pk_add_f32 v[156:157], v[168:169], v[164:165] neg_lo:[0,1] neg_hi:[0,1]
	v_pk_add_f32 v[122:123], v[122:123], v[194:195] op_sel:[0,1] op_sel_hi:[1,0] neg_lo:[0,1] neg_hi:[0,1]
	v_pk_add_f32 v[128:129], v[128:129], v[174:175]
	v_pk_add_f32 v[196:197], v[200:201], v[196:197] op_sel:[1,0] op_sel_hi:[0,1]
	v_pk_add_f32 v[152:153], v[152:153], v[156:157]
	v_mov_b32_e32 v137, v177
	v_pk_add_f32 v[122:123], v[122:123], v[200:201] op_sel:[0,1] op_sel_hi:[1,0] neg_lo:[0,1] neg_hi:[0,1]
	v_pk_fma_f32 v[156:157], v[152:153], s[8:9], v[196:197] op_sel_hi:[1,0,1]
	v_fmamk_f32 v129, v199, 0x3f737871, v19
	v_pk_mul_f32 v[136:137], v[136:137], s[8:9]
	v_mov_b32_e32 v196, v122
	v_sub_f32_e32 v129, v129, v137
	v_pk_fma_f32 v[168:169], v[152:153], s[8:9], v[196:197] op_sel_hi:[1,0,1]
	v_add_f32_e32 v164, v136, v129
	v_mov_b32_e32 v129, v176
	v_pk_mul_f32 v[176:177], v[168:169], s[2:3] op_sel_hi:[1,0]
	v_fmac_f32_e32 v19, 0xbf737871, v199
	v_pk_fma_f32 v[194:195], v[168:169], s[18:19], v[176:177] op_sel:[0,0,1] op_sel_hi:[1,0,0] neg_lo:[0,0,1] neg_hi:[0,0,1]
	v_pk_fma_f32 v[168:169], v[168:169], s[18:19], v[176:177] op_sel:[0,0,1] op_sel_hi:[1,0,0]
	v_pk_add_f32 v[126:127], v[126:127], v[130:131] neg_lo:[0,1] neg_hi:[0,1]
	v_mov_b32_e32 v195, v169
	v_pk_add_f32 v[168:169], v[134:135], v[130:131]
	v_pk_add_f32 v[134:135], v[138:139], v[134:135] neg_lo:[0,1] neg_hi:[0,1]
	v_add_f32_e32 v19, v137, v19
	v_pk_fma_f32 v[160:161], v[168:169], 0.5, v[160:161] op_sel_hi:[1,0,1] neg_lo:[1,0,0] neg_hi:[1,0,0]
	v_pk_add_f32 v[130:131], v[134:135], v[126:127]
	v_pk_mul_f32 v[126:127], v[184:185], s[10:11] op_sel_hi:[1,0]
	v_add_f32_e32 v136, v136, v19
	v_fmamk_f32 v19, v198, 0xbf737871, v149
	v_pk_mul_f32 v[128:129], v[128:129], s[8:9]
	v_pk_mul_f32 v[134:135], v[180:181], s[2:3] op_sel_hi:[1,0]
	v_pk_add_f32 v[138:139], v[160:161], v[126:127] op_sel:[0,1] op_sel_hi:[1,0]
	v_pk_add_f32 v[126:127], v[160:161], v[126:127] op_sel:[0,1] op_sel_hi:[1,0] neg_lo:[0,1] neg_hi:[0,1]
	v_add_f32_e32 v19, v129, v19
	v_fmac_f32_e32 v149, 0x3f737871, v198
	v_pk_add_f32 v[160:161], v[126:127], v[134:135] op_sel:[0,1] op_sel_hi:[1,0]
	v_pk_add_f32 v[134:135], v[138:139], v[134:135] op_sel:[0,1] op_sel_hi:[1,0] neg_lo:[0,1] neg_hi:[0,1]
	v_pk_fma_f32 v[122:123], v[152:153], s[8:9], v[122:123] op_sel_hi:[1,0,1]
	v_add_f32_e32 v152, v128, v19
	v_sub_f32_e32 v19, v149, v129
	v_mov_b32_e32 v126, v134
	v_mov_b32_e32 v127, v161
	v_add_f32_e32 v128, v128, v19
	v_pk_fma_f32 v[138:139], v[130:131], s[8:9], v[126:127] op_sel_hi:[1,0,1]
	v_pk_mul_f32 v[126:127], v[152:153], s[10:11] op_sel_hi:[0,1]
	v_pk_fma_f32 v[152:153], v[164:165], s[20:21], v[126:127] neg_lo:[0,0,1] neg_hi:[0,0,1]
	v_pk_fma_f32 v[126:127], v[164:165], s[20:21], v[126:127] op_sel_hi:[0,1,1]
	v_pk_mul_f32 v[128:129], v[128:129], s[10:11] op_sel_hi:[0,1]
	v_mov_b32_e32 v161, v135
	v_mov_b32_e32 v183, v187
	v_pk_mul_f32 v[122:123], v[122:123], s[2:3] op_sel:[1,0]
	v_mov_b32_e32 v153, v127
	v_pk_fma_f32 v[164:165], v[136:137], s[16:17], v[128:129] op_sel_hi:[0,1,1] neg_lo:[0,0,1] neg_hi:[0,0,1]
	v_pk_fma_f32 v[160:161], v[130:131], s[8:9], v[160:161] op_sel_hi:[1,0,1]
	v_pk_fma_f32 v[168:169], v[190:191], s[8:9], v[182:183] op_sel_hi:[1,0,1]
	v_pk_fma_f32 v[122:123], v[156:157], s[12:13], v[122:123] op_sel_hi:[0,1,1] neg_lo:[0,0,1] neg_hi:[0,0,1]
	v_pk_add_f32 v[174:175], v[132:133], v[178:179]
	v_pk_add_f32 v[176:177], v[192:193], v[194:195]
	;; [unrolled: 1-line block ×5, first 2 shown]
	v_pk_add_f32 v[180:181], v[168:169], v[122:123] neg_lo:[0,1] neg_hi:[0,1]
	v_pk_add_f32 v[122:123], v[120:121], v[104:105]
	v_pk_add_f32 v[132:133], v[132:133], v[178:179] neg_lo:[0,1] neg_hi:[0,1]
	v_pk_add_f32 v[134:135], v[192:193], v[194:195] neg_lo:[0,1] neg_hi:[0,1]
	;; [unrolled: 1-line block ×4, first 2 shown]
	v_pk_add_f32 v[122:123], v[122:123], v[108:109]
	s_waitcnt lgkmcnt(0)
	; wave barrier
	ds_write_b128 v146, v[174:177]
	ds_write_b128 v146, v[126:129] offset:16
	ds_write_b128 v146, v[130:133] offset:32
	;; [unrolled: 1-line block ×4, first 2 shown]
	v_pk_add_f32 v[126:127], v[108:109], v[116:117]
	v_pk_add_f32 v[128:129], v[104:105], v[112:113] neg_lo:[0,1] neg_hi:[0,1]
	v_pk_add_f32 v[122:123], v[122:123], v[116:117]
	v_mov_b32_e32 v152, v158
	v_mov_b32_e32 v153, v166
	;; [unrolled: 1-line block ×4, first 2 shown]
	v_pk_fma_f32 v[126:127], v[126:127], 0.5, v[120:121] op_sel_hi:[1,0,1] neg_lo:[1,0,0] neg_hi:[1,0,0]
	v_pk_mul_f32 v[130:131], v[128:129], s[10:11] op_sel_hi:[1,0]
	v_pk_add_f32 v[132:133], v[108:109], v[116:117] neg_lo:[0,1] neg_hi:[0,1]
	v_pk_add_f32 v[136:137], v[104:105], v[108:109] neg_lo:[0,1] neg_hi:[0,1]
	;; [unrolled: 1-line block ×3, first 2 shown]
	v_pk_add_f32 v[138:139], v[122:123], v[112:113]
	v_pk_add_f32 v[122:123], v[154:155], v[170:171]
	v_pk_add_f32 v[152:153], v[152:153], v[156:157] neg_lo:[0,1] neg_hi:[0,1]
	v_pk_mul_f32 v[134:135], v[132:133], s[2:3] op_sel_hi:[1,0]
	v_pk_add_f32 v[136:137], v[136:137], v[164:165]
	v_pk_add_f32 v[164:165], v[126:127], v[130:131] op_sel:[0,1] op_sel_hi:[1,0] neg_lo:[0,1] neg_hi:[0,1]
	v_fma_f32 v19, -0.5, v122, v124
	v_mov_b32_e32 v122, v153
	v_pk_add_f32 v[126:127], v[126:127], v[130:131] op_sel:[0,1] op_sel_hi:[1,0]
	v_pk_add_f32 v[130:131], v[164:165], v[134:135] op_sel:[0,1] op_sel_hi:[1,0] neg_lo:[0,1] neg_hi:[0,1]
	v_pk_add_f32 v[164:165], v[158:159], v[166:167]
	v_pk_add_f32 v[152:153], v[152:153], v[122:123]
	;; [unrolled: 1-line block ×3, first 2 shown]
	v_fma_f32 v149, -0.5, v123, v125
	v_mov_b32_e32 v122, v159
	v_mov_b32_e32 v123, v167
	;; [unrolled: 1-line block ×4, first 2 shown]
	v_pk_fma_f32 v[124:125], v[164:165], 0.5, v[124:125] op_sel_hi:[1,0,1] neg_lo:[1,0,0] neg_hi:[1,0,0]
	v_pk_add_f32 v[164:165], v[154:155], v[170:171] neg_lo:[0,1] neg_hi:[0,1]
	v_pk_add_f32 v[122:123], v[122:123], v[160:161] neg_lo:[0,1] neg_hi:[0,1]
	v_pk_mul_f32 v[168:169], v[164:165], s[10:11] op_sel_hi:[1,0]
	v_pk_add_f32 v[176:177], v[158:159], v[166:167] neg_lo:[0,1] neg_hi:[0,1]
	v_pk_add_f32 v[156:157], v[156:157], v[158:159]
	v_mov_b32_e32 v160, v123
	v_pk_add_f32 v[126:127], v[126:127], v[134:135] op_sel:[0,1] op_sel_hi:[1,0]
	v_pk_add_f32 v[174:175], v[124:125], v[168:169] op_sel:[0,1] op_sel_hi:[1,0]
	v_pk_mul_f32 v[178:179], v[176:177], s[2:3] op_sel_hi:[1,0]
	v_pk_add_f32 v[154:155], v[154:155], v[158:159] neg_lo:[0,1] neg_hi:[0,1]
	v_pk_add_f32 v[158:159], v[170:171], v[166:167] neg_lo:[0,1] neg_hi:[0,1]
	v_mov_b32_e32 v153, v165
	v_pk_add_f32 v[124:125], v[124:125], v[168:169] op_sel:[0,1] op_sel_hi:[1,0] neg_lo:[0,1] neg_hi:[0,1]
	v_pk_add_f32 v[160:161], v[122:123], v[160:161]
	v_mov_b32_e32 v135, v127
	v_pk_add_f32 v[174:175], v[178:179], v[174:175] op_sel:[1,0] op_sel_hi:[0,1]
	v_pk_add_f32 v[154:155], v[154:155], v[158:159]
	v_fmamk_f32 v127, v177, 0x3f737871, v19
	v_pk_mul_f32 v[152:153], v[152:153], s[8:9]
	v_fmac_f32_e32 v19, 0xbf737871, v177
	v_pk_add_f32 v[124:125], v[124:125], v[178:179] op_sel:[0,1] op_sel_hi:[1,0] neg_lo:[0,1] neg_hi:[0,1]
	v_pk_fma_f32 v[158:159], v[154:155], s[8:9], v[174:175] op_sel_hi:[1,0,1]
	v_sub_f32_e32 v127, v127, v153
	v_add_f32_e32 v19, v153, v19
	v_mov_b32_e32 v174, v124
	v_mov_b32_e32 v161, v164
	;; [unrolled: 1-line block ×3, first 2 shown]
	v_add_f32_e32 v130, v152, v127
	v_add_f32_e32 v146, v152, v19
	v_pk_fma_f32 v[152:153], v[154:155], s[8:9], v[174:175] op_sel_hi:[1,0,1]
	v_pk_fma_f32 v[154:155], v[154:155], s[8:9], v[124:125] op_sel_hi:[1,0,1]
	v_fmamk_f32 v19, v176, 0xbf737871, v149
	v_pk_mul_f32 v[124:125], v[160:161], s[8:9]
	v_fmac_f32_e32 v149, 0x3f737871, v176
	v_add_f32_e32 v19, v125, v19
	v_add_f32_e32 v160, v124, v19
	v_sub_f32_e32 v19, v149, v125
	v_add_f32_e32 v164, v124, v19
	v_pk_mul_f32 v[124:125], v[152:153], s[2:3] op_sel_hi:[1,0]
	v_pk_add_f32 v[156:157], v[156:157], v[166:167]
	v_pk_fma_f32 v[166:167], v[152:153], s[18:19], v[124:125] op_sel:[0,0,1] op_sel_hi:[1,0,0] neg_lo:[0,0,1] neg_hi:[0,0,1]
	v_pk_fma_f32 v[124:125], v[152:153], s[18:19], v[124:125] op_sel:[0,0,1] op_sel_hi:[1,0,0]
	v_pk_add_f32 v[156:157], v[156:157], v[170:171]
	v_pk_fma_f32 v[134:135], v[136:137], s[8:9], v[134:135] op_sel_hi:[1,0,1]
	v_mov_b32_e32 v167, v125
	v_pk_add_f32 v[122:123], v[138:139], v[156:157]
	v_pk_add_f32 v[124:125], v[134:135], v[166:167]
	ds_write_b128 v148, v[122:125]
	v_pk_add_f32 v[122:123], v[104:105], v[112:113]
	v_pk_add_f32 v[104:105], v[108:109], v[104:105] neg_lo:[0,1] neg_hi:[0,1]
	v_pk_add_f32 v[108:109], v[116:117], v[112:113] neg_lo:[0,1] neg_hi:[0,1]
	v_pk_fma_f32 v[120:121], v[122:123], 0.5, v[120:121] op_sel_hi:[1,0,1] neg_lo:[1,0,0] neg_hi:[1,0,0]
	v_pk_add_f32 v[104:105], v[104:105], v[108:109]
	v_pk_mul_f32 v[108:109], v[132:133], s[10:11] op_sel_hi:[1,0]
	v_pk_mul_f32 v[112:113], v[128:129], s[2:3] op_sel_hi:[1,0]
	v_pk_add_f32 v[116:117], v[120:121], v[108:109] op_sel:[0,1] op_sel_hi:[1,0]
	v_pk_add_f32 v[108:109], v[120:121], v[108:109] op_sel:[0,1] op_sel_hi:[1,0] neg_lo:[0,1] neg_hi:[0,1]
	v_pk_mul_f32 v[120:121], v[160:161], s[10:11] op_sel_hi:[0,1]
	v_pk_add_f32 v[108:109], v[108:109], v[112:113] op_sel:[0,1] op_sel_hi:[1,0]
	v_pk_add_f32 v[112:113], v[116:117], v[112:113] op_sel:[0,1] op_sel_hi:[1,0] neg_lo:[0,1] neg_hi:[0,1]
	v_mov_b32_e32 v117, v109
	v_mov_b32_e32 v116, v112
	v_pk_fma_f32 v[124:125], v[130:131], s[20:21], v[120:121] neg_lo:[0,0,1] neg_hi:[0,0,1]
	v_pk_fma_f32 v[120:121], v[130:131], s[20:21], v[120:121] op_sel_hi:[0,1,1]
	v_pk_mul_f32 v[122:123], v[164:165], s[10:11] op_sel_hi:[0,1]
	v_mov_b32_e32 v109, v113
	v_pk_fma_f32 v[116:117], v[104:105], s[8:9], v[116:117] op_sel_hi:[1,0,1]
	v_mov_b32_e32 v125, v121
	v_pk_fma_f32 v[128:129], v[146:147], s[16:17], v[122:123] op_sel_hi:[0,1,1] neg_lo:[0,0,1] neg_hi:[0,0,1]
	v_pk_fma_f32 v[104:105], v[104:105], s[8:9], v[108:109] op_sel_hi:[1,0,1]
	v_mov_b32_e32 v127, v131
	v_pk_mul_f32 v[112:113], v[154:155], s[2:3] op_sel:[1,0]
	v_pk_add_f32 v[120:121], v[116:117], v[124:125]
	v_pk_add_f32 v[122:123], v[104:105], v[128:129]
	v_pk_fma_f32 v[108:109], v[136:137], s[8:9], v[126:127] op_sel_hi:[1,0,1]
	v_pk_fma_f32 v[112:113], v[158:159], s[12:13], v[112:113] op_sel_hi:[0,1,1] neg_lo:[0,0,1] neg_hi:[0,0,1]
	ds_write_b128 v148, v[120:123] offset:16
	v_pk_add_f32 v[120:121], v[108:109], v[112:113]
	v_pk_add_f32 v[122:123], v[138:139], v[156:157] neg_lo:[0,1] neg_hi:[0,1]
	v_mov_b32_e32 v107, v115
	v_pk_fma_f32 v[114:115], v[102:103], s[8:9], v[96:97] op_sel_hi:[1,0,1]
	ds_write_b128 v148, v[120:123] offset:32
	v_pk_add_f32 v[120:121], v[134:135], v[166:167] neg_lo:[0,1] neg_hi:[0,1]
	v_pk_add_f32 v[122:123], v[116:117], v[124:125] neg_lo:[0,1] neg_hi:[0,1]
	;; [unrolled: 1-line block ×4, first 2 shown]
	ds_write_b128 v148, v[120:123] offset:48
	v_pk_add_f32 v[120:121], v[104:105], v[128:129] neg_lo:[0,1] neg_hi:[0,1]
	v_pk_add_f32 v[122:123], v[108:109], v[112:113] neg_lo:[0,1] neg_hi:[0,1]
	v_pk_add_f32 v[108:109], v[110:111], v[118:119]
	v_pk_add_f32 v[110:111], v[144:145], v[140:141]
	;; [unrolled: 1-line block ×4, first 2 shown]
	v_pk_add_f32 v[100:101], v[144:145], v[140:141] neg_lo:[0,1] neg_hi:[0,1]
	v_pk_add_f32 v[96:97], v[16:17], v[142:143] neg_lo:[0,1] neg_hi:[0,1]
	ds_write_b128 v148, v[120:123] offset:64
	ds_write_b128 v147, v[108:111]
	ds_write_b128 v147, v[104:107] offset:16
	ds_write_b128 v147, v[92:95] offset:32
	ds_write_b128 v147, v[100:103] offset:48
	ds_write_b128 v147, v[96:99] offset:64
	s_waitcnt lgkmcnt(0)
	; wave barrier
	s_waitcnt lgkmcnt(0)
	ds_read2_b64 v[144:147], v150 offset0:60 offset1:76
	ds_read2_b64 v[124:127], v150 offset0:92 offset1:120
	;; [unrolled: 1-line block ×9, first 2 shown]
	ds_read2_b64 v[120:123], v18 offset1:16
	ds_read2_b64 v[112:115], v18 offset0:120 offset1:136
	ds_read_b64 v[186:187], v204
	ds_read_b64 v[160:161], v150 offset:3616
	s_and_saveexec_b64 s[2:3], s[0:1]
	s_xor_b64 s[0:1], exec, s[2:3]
	s_or_saveexec_b64 s[0:1], s[0:1]
	v_mov_b32_e32 v18, v64
	v_mov_b32_e32 v19, v64
	;; [unrolled: 1-line block ×63, first 2 shown]
	s_xor_b64 exec, exec, s[0:1]
	s_cbranch_execz .LBB0_7
; %bb.6:
	v_add_u32_e32 v16, 0x800, v150
	ds_read2_b64 v[152:155], v16 offset0:152 offset1:212
	ds_read2_b64 v[92:95], v150 offset0:48 offset1:108
	;; [unrolled: 1-line block ×4, first 2 shown]
	s_waitcnt lgkmcnt(3)
	v_mov_b32_e32 v17, v153
	v_mov_b32_e32 v16, v155
	v_accvgpr_write_b32 a73, v17
	v_mov_b32_e32 v155, v152
	v_accvgpr_write_b32 a68, v154
	v_accvgpr_write_b32 a72, v16
	;; [unrolled: 1-line block ×3, first 2 shown]
.LBB0_7:
	s_or_b64 exec, exec, s[0:1]
	v_mov_b32_e32 v212, v222
	v_mov_b32_e32 v213, v222
	;; [unrolled: 1-line block ×3, first 2 shown]
	v_accvgpr_write_b32 a70, v222
	v_accvgpr_write_b32 a71, v223
	v_accvgpr_read_b32 v223, a75
	v_accvgpr_read_b32 v222, a74
	v_mov_b32_e32 v16, v222
	v_mov_b32_e32 v17, v222
	;; [unrolled: 1-line block ×3, first 2 shown]
	v_accvgpr_write_b32 a74, v222
	s_waitcnt lgkmcnt(12)
	v_pk_mul_f32 v[64:65], v[64:65], v[144:145]
	v_accvgpr_write_b32 a75, v223
	s_waitcnt lgkmcnt(11)
	v_pk_mul_f32 v[66:67], v[66:67], v[126:127]
	v_pk_fma_f32 v[222:223], v[18:19], v[144:145], v[64:65] op_sel:[0,0,1] op_sel_hi:[1,1,0]
	v_pk_fma_f32 v[18:19], v[18:19], v[144:145], v[64:65] op_sel:[0,0,1] op_sel_hi:[1,1,0] neg_lo:[0,0,1] neg_hi:[0,0,1]
	s_waitcnt lgkmcnt(10)
	v_pk_mul_f32 v[56:57], v[56:57], v[140:141]
	v_mov_b32_e32 v223, v19
	v_pk_fma_f32 v[18:19], v[208:209], v[126:127], v[66:67] op_sel:[0,0,1] op_sel_hi:[1,1,0]
	v_pk_fma_f32 v[64:65], v[208:209], v[126:127], v[66:67] op_sel:[0,0,1] op_sel_hi:[1,1,0] neg_lo:[0,0,1] neg_hi:[0,0,1]
	s_waitcnt lgkmcnt(9)
	v_pk_mul_f32 v[58:59], v[58:59], v[118:119]
	v_mov_b32_e32 v19, v65
	;; [unrolled: 5-line block ×5, first 2 shown]
	v_pk_fma_f32 v[40:41], v[204:205], v[110:111], v[42:43] op_sel:[0,0,1] op_sel_hi:[1,1,0]
	v_pk_fma_f32 v[42:43], v[204:205], v[110:111], v[42:43] op_sel:[0,0,1] op_sel_hi:[1,1,0] neg_lo:[0,0,1] neg_hi:[0,0,1]
	v_pk_fma_f32 v[66:67], v[220:221], v[132:133], v[202:203] op_sel:[0,0,1] op_sel_hi:[1,1,0] neg_lo:[0,0,1] neg_hi:[0,0,1]
	v_mov_b32_e32 v41, v43
	v_pk_fma_f32 v[42:43], v[220:221], v[132:133], v[202:203] op_sel:[0,0,1] op_sel_hi:[1,1,0]
	s_waitcnt lgkmcnt(1)
	v_pk_add_f32 v[56:57], v[186:187], v[56:57] neg_lo:[0,1] neg_hi:[0,1]
	v_pk_add_f32 v[40:41], v[18:19], v[40:41] neg_lo:[0,1] neg_hi:[0,1]
	v_mov_b32_e32 v43, v67
	v_pk_fma_f32 v[18:19], v[18:19], 2.0, v[40:41] op_sel_hi:[1,0,1] neg_lo:[0,0,1] neg_hi:[0,0,1]
	v_pk_add_f32 v[118:119], v[56:57], v[40:41] op_sel:[0,1] op_sel_hi:[1,0]
	v_pk_add_f32 v[40:41], v[56:57], v[40:41] op_sel:[0,1] op_sel_hi:[1,0] neg_lo:[0,1] neg_hi:[0,1]
	v_pk_add_f32 v[58:59], v[222:223], v[58:59] neg_lo:[0,1] neg_hi:[0,1]
	v_pk_add_f32 v[42:43], v[64:65], v[42:43] neg_lo:[0,1] neg_hi:[0,1]
	v_mov_b32_e32 v119, v41
	v_pk_fma_f32 v[66:67], v[186:187], 2.0, v[56:57] op_sel_hi:[1,0,1] neg_lo:[0,0,1] neg_hi:[0,0,1]
	v_pk_fma_f32 v[64:65], v[64:65], 2.0, v[42:43] op_sel_hi:[1,0,1] neg_lo:[0,0,1] neg_hi:[0,0,1]
	;; [unrolled: 1-line block ×3, first 2 shown]
	v_pk_add_f32 v[56:57], v[58:59], v[42:43] op_sel:[0,1] op_sel_hi:[1,0]
	v_pk_add_f32 v[42:43], v[58:59], v[42:43] op_sel:[0,1] op_sel_hi:[1,0] neg_lo:[0,1] neg_hi:[0,1]
	v_pk_fma_f32 v[110:111], v[222:223], 2.0, v[58:59] op_sel_hi:[1,0,1] neg_lo:[0,0,1] neg_hi:[0,0,1]
	v_mov_b32_e32 v57, v43
	v_pk_fma_f32 v[42:43], v[58:59], 2.0, v[56:57] op_sel_hi:[1,0,1] neg_lo:[0,0,1] neg_hi:[0,0,1]
	s_mov_b32 s0, 0x3f3504f3
	v_pk_add_f32 v[18:19], v[66:67], v[18:19] neg_lo:[0,1] neg_hi:[0,1]
	v_pk_add_f32 v[64:65], v[110:111], v[64:65] neg_lo:[0,1] neg_hi:[0,1]
	v_pk_mul_f32 v[58:59], v[42:43], s[0:1] op_sel_hi:[1,0]
	v_pk_fma_f32 v[42:43], v[42:43], s[0:1], v[40:41] op_sel_hi:[1,0,1] neg_lo:[1,0,0] neg_hi:[1,0,0]
	v_pk_fma_f32 v[66:67], v[66:67], 2.0, v[18:19] op_sel_hi:[1,0,1] neg_lo:[0,0,1] neg_hi:[0,0,1]
	v_pk_fma_f32 v[110:111], v[110:111], 2.0, v[64:65] op_sel_hi:[1,0,1] neg_lo:[0,0,1] neg_hi:[0,0,1]
	v_pk_add_f32 v[126:127], v[42:43], v[58:59] op_sel:[0,1] op_sel_hi:[1,0]
	v_pk_add_f32 v[42:43], v[42:43], v[58:59] op_sel:[0,1] op_sel_hi:[1,0] neg_lo:[0,1] neg_hi:[0,1]
	v_pk_add_f32 v[110:111], v[66:67], v[110:111] neg_lo:[0,1] neg_hi:[0,1]
	v_mov_b32_e32 v127, v43
	v_pk_fma_f32 v[66:67], v[66:67], 2.0, v[110:111] op_sel_hi:[1,0,1] neg_lo:[0,0,1] neg_hi:[0,0,1]
	v_pk_fma_f32 v[40:41], v[40:41], 2.0, v[126:127] op_sel_hi:[1,0,1] neg_lo:[0,0,1] neg_hi:[0,0,1]
	s_waitcnt lgkmcnt(0)
	; wave barrier
	s_waitcnt lgkmcnt(0)
	ds_write2_b64 v151, v[66:67], v[40:41] offset1:10
	v_pk_add_f32 v[40:41], v[18:19], v[64:65] op_sel:[0,1] op_sel_hi:[1,0]
	v_pk_add_f32 v[42:43], v[18:19], v[64:65] op_sel:[0,1] op_sel_hi:[1,0] neg_lo:[0,1] neg_hi:[0,1]
	v_pk_mul_f32 v[60:61], v[60:61], v[146:147]
	v_mov_b32_e32 v41, v43
	v_pk_mul_f32 v[42:43], v[56:57], s[0:1] op_sel_hi:[1,0]
	v_pk_fma_f32 v[56:57], v[56:57], s[0:1], v[118:119] op_sel_hi:[1,0,1]
	v_pk_fma_f32 v[18:19], v[18:19], 2.0, v[40:41] op_sel_hi:[1,0,1] neg_lo:[0,0,1] neg_hi:[0,0,1]
	v_pk_add_f32 v[58:59], v[56:57], v[42:43] op_sel:[0,1] op_sel_hi:[1,0]
	v_pk_add_f32 v[42:43], v[56:57], v[42:43] op_sel:[0,1] op_sel_hi:[1,0] neg_lo:[0,1] neg_hi:[0,1]
	v_pk_mul_f32 v[62:63], v[62:63], v[128:129]
	v_mov_b32_e32 v59, v43
	v_pk_fma_f32 v[42:43], v[118:119], 2.0, v[58:59] op_sel_hi:[1,0,1] neg_lo:[0,0,1] neg_hi:[0,0,1]
	ds_write2_b64 v151, v[18:19], v[42:43] offset0:20 offset1:30
	ds_write2_b64 v151, v[110:111], v[126:127] offset0:40 offset1:50
	;; [unrolled: 1-line block ×3, first 2 shown]
	v_pk_fma_f32 v[18:19], v[200:201], v[146:147], v[60:61] op_sel:[0,0,1] op_sel_hi:[1,1,0]
	v_pk_fma_f32 v[40:41], v[200:201], v[146:147], v[60:61] op_sel:[0,0,1] op_sel_hi:[1,1,0] neg_lo:[0,0,1] neg_hi:[0,0,1]
	v_pk_mul_f32 v[48:49], v[48:49], v[142:143]
	v_mov_b32_e32 v19, v41
	v_pk_fma_f32 v[40:41], v[198:199], v[128:129], v[62:63] op_sel:[0,0,1] op_sel_hi:[1,1,0]
	v_pk_fma_f32 v[42:43], v[198:199], v[128:129], v[62:63] op_sel:[0,0,1] op_sel_hi:[1,1,0] neg_lo:[0,0,1] neg_hi:[0,0,1]
	v_pk_mul_f32 v[50:51], v[50:51], v[120:121]
	v_mov_b32_e32 v41, v43
	;; [unrolled: 4-line block ×5, first 2 shown]
	v_pk_fma_f32 v[32:33], v[190:191], v[112:113], v[34:35] op_sel:[0,0,1] op_sel_hi:[1,1,0]
	v_pk_fma_f32 v[34:35], v[190:191], v[112:113], v[34:35] op_sel:[0,0,1] op_sel_hi:[1,1,0] neg_lo:[0,0,1] neg_hi:[0,0,1]
	v_pk_fma_f32 v[56:57], v[218:219], v[134:135], v[188:189] op_sel:[0,0,1] op_sel_hi:[1,1,0] neg_lo:[0,0,1] neg_hi:[0,0,1]
	v_mov_b32_e32 v33, v35
	v_pk_fma_f32 v[34:35], v[218:219], v[134:135], v[188:189] op_sel:[0,0,1] op_sel_hi:[1,1,0]
	v_pk_add_f32 v[48:49], v[104:105], v[48:49] neg_lo:[0,1] neg_hi:[0,1]
	v_pk_add_f32 v[32:33], v[40:41], v[32:33] neg_lo:[0,1] neg_hi:[0,1]
	v_mov_b32_e32 v35, v57
	v_pk_fma_f32 v[40:41], v[40:41], 2.0, v[32:33] op_sel_hi:[1,0,1] neg_lo:[0,0,1] neg_hi:[0,0,1]
	v_pk_add_f32 v[58:59], v[48:49], v[32:33] op_sel:[0,1] op_sel_hi:[1,0]
	v_pk_add_f32 v[32:33], v[48:49], v[32:33] op_sel:[0,1] op_sel_hi:[1,0] neg_lo:[0,1] neg_hi:[0,1]
	v_pk_add_f32 v[50:51], v[18:19], v[50:51] neg_lo:[0,1] neg_hi:[0,1]
	v_pk_add_f32 v[34:35], v[42:43], v[34:35] neg_lo:[0,1] neg_hi:[0,1]
	v_mov_b32_e32 v59, v33
	v_pk_fma_f32 v[56:57], v[104:105], 2.0, v[48:49] op_sel_hi:[1,0,1] neg_lo:[0,0,1] neg_hi:[0,0,1]
	v_pk_fma_f32 v[42:43], v[42:43], 2.0, v[34:35] op_sel_hi:[1,0,1] neg_lo:[0,0,1] neg_hi:[0,0,1]
	;; [unrolled: 1-line block ×3, first 2 shown]
	v_pk_add_f32 v[48:49], v[50:51], v[34:35] op_sel:[0,1] op_sel_hi:[1,0]
	v_pk_add_f32 v[34:35], v[50:51], v[34:35] op_sel:[0,1] op_sel_hi:[1,0] neg_lo:[0,1] neg_hi:[0,1]
	v_pk_fma_f32 v[18:19], v[18:19], 2.0, v[50:51] op_sel_hi:[1,0,1] neg_lo:[0,0,1] neg_hi:[0,0,1]
	v_mov_b32_e32 v49, v35
	v_pk_fma_f32 v[34:35], v[50:51], 2.0, v[48:49] op_sel_hi:[1,0,1] neg_lo:[0,0,1] neg_hi:[0,0,1]
	v_pk_add_f32 v[40:41], v[56:57], v[40:41] neg_lo:[0,1] neg_hi:[0,1]
	v_pk_add_f32 v[42:43], v[18:19], v[42:43] neg_lo:[0,1] neg_hi:[0,1]
	v_pk_mul_f32 v[50:51], v[34:35], s[0:1] op_sel_hi:[1,0]
	v_pk_fma_f32 v[34:35], v[34:35], s[0:1], v[32:33] op_sel_hi:[1,0,1] neg_lo:[1,0,0] neg_hi:[1,0,0]
	v_pk_fma_f32 v[56:57], v[56:57], 2.0, v[40:41] op_sel_hi:[1,0,1] neg_lo:[0,0,1] neg_hi:[0,0,1]
	v_pk_fma_f32 v[18:19], v[18:19], 2.0, v[42:43] op_sel_hi:[1,0,1] neg_lo:[0,0,1] neg_hi:[0,0,1]
	v_pk_add_f32 v[60:61], v[34:35], v[50:51] op_sel:[0,1] op_sel_hi:[1,0]
	v_pk_add_f32 v[34:35], v[34:35], v[50:51] op_sel:[0,1] op_sel_hi:[1,0] neg_lo:[0,1] neg_hi:[0,1]
	v_pk_add_f32 v[18:19], v[56:57], v[18:19] neg_lo:[0,1] neg_hi:[0,1]
	v_mov_b32_e32 v61, v35
	v_pk_fma_f32 v[56:57], v[56:57], 2.0, v[18:19] op_sel_hi:[1,0,1] neg_lo:[0,0,1] neg_hi:[0,0,1]
	v_pk_fma_f32 v[32:33], v[32:33], 2.0, v[60:61] op_sel_hi:[1,0,1] neg_lo:[0,0,1] neg_hi:[0,0,1]
	v_accvgpr_read_b32 v50, a76
	ds_write2_b64 v50, v[56:57], v[32:33] offset1:10
	v_pk_add_f32 v[32:33], v[40:41], v[42:43] op_sel:[0,1] op_sel_hi:[1,0]
	v_pk_add_f32 v[34:35], v[40:41], v[42:43] op_sel:[0,1] op_sel_hi:[1,0] neg_lo:[0,1] neg_hi:[0,1]
	v_pk_fma_f32 v[42:43], v[48:49], s[0:1], v[58:59] op_sel_hi:[1,0,1]
	v_mov_b32_e32 v33, v35
	v_pk_fma_f32 v[34:35], v[40:41], 2.0, v[32:33] op_sel_hi:[1,0,1] neg_lo:[0,0,1] neg_hi:[0,0,1]
	v_pk_mul_f32 v[40:41], v[48:49], s[0:1] op_sel_hi:[1,0]
	v_pk_mul_f32 v[52:53], v[52:53], v[124:125]
	v_pk_add_f32 v[48:49], v[42:43], v[40:41] op_sel:[0,1] op_sel_hi:[1,0]
	v_pk_add_f32 v[40:41], v[42:43], v[40:41] op_sel:[0,1] op_sel_hi:[1,0] neg_lo:[0,1] neg_hi:[0,1]
	v_pk_mul_f32 v[54:55], v[54:55], v[130:131]
	v_mov_b32_e32 v49, v41
	v_pk_fma_f32 v[40:41], v[58:59], 2.0, v[48:49] op_sel_hi:[1,0,1] neg_lo:[0,0,1] neg_hi:[0,0,1]
	ds_write2_b64 v50, v[34:35], v[40:41] offset0:20 offset1:30
	ds_write2_b64 v50, v[18:19], v[60:61] offset0:40 offset1:50
	;; [unrolled: 1-line block ×3, first 2 shown]
	v_pk_fma_f32 v[18:19], v[184:185], v[124:125], v[52:53] op_sel:[0,0,1] op_sel_hi:[1,1,0]
	v_pk_fma_f32 v[32:33], v[184:185], v[124:125], v[52:53] op_sel:[0,0,1] op_sel_hi:[1,1,0] neg_lo:[0,0,1] neg_hi:[0,0,1]
	v_pk_mul_f32 v[36:37], v[36:37], v[116:117]
	v_mov_b32_e32 v19, v33
	v_pk_fma_f32 v[32:33], v[182:183], v[130:131], v[54:55] op_sel:[0,0,1] op_sel_hi:[1,1,0]
	v_pk_fma_f32 v[34:35], v[182:183], v[130:131], v[54:55] op_sel:[0,0,1] op_sel_hi:[1,1,0] neg_lo:[0,0,1] neg_hi:[0,0,1]
	v_pk_mul_f32 v[38:39], v[38:39], v[122:123]
	v_mov_b32_e32 v33, v35
	;; [unrolled: 4-line block ×5, first 2 shown]
	v_pk_fma_f32 v[28:29], v[174:175], v[114:115], v[30:31] op_sel:[0,0,1] op_sel_hi:[1,1,0]
	v_pk_fma_f32 v[30:31], v[174:175], v[114:115], v[30:31] op_sel:[0,0,1] op_sel_hi:[1,1,0] neg_lo:[0,0,1] neg_hi:[0,0,1]
	v_pk_fma_f32 v[40:41], v[216:217], v[160:161], v[172:173] op_sel:[0,0,1] op_sel_hi:[1,1,0] neg_lo:[0,0,1] neg_hi:[0,0,1]
	v_mov_b32_e32 v29, v31
	v_pk_fma_f32 v[30:31], v[216:217], v[160:161], v[172:173] op_sel:[0,0,1] op_sel_hi:[1,1,0]
	v_pk_add_f32 v[36:37], v[106:107], v[36:37] neg_lo:[0,1] neg_hi:[0,1]
	v_pk_add_f32 v[28:29], v[32:33], v[28:29] neg_lo:[0,1] neg_hi:[0,1]
	v_mov_b32_e32 v31, v41
	v_pk_fma_f32 v[32:33], v[32:33], 2.0, v[28:29] op_sel_hi:[1,0,1] neg_lo:[0,0,1] neg_hi:[0,0,1]
	v_pk_add_f32 v[42:43], v[36:37], v[28:29] op_sel:[0,1] op_sel_hi:[1,0]
	v_pk_add_f32 v[28:29], v[36:37], v[28:29] op_sel:[0,1] op_sel_hi:[1,0] neg_lo:[0,1] neg_hi:[0,1]
	v_pk_add_f32 v[38:39], v[18:19], v[38:39] neg_lo:[0,1] neg_hi:[0,1]
	v_pk_add_f32 v[30:31], v[34:35], v[30:31] neg_lo:[0,1] neg_hi:[0,1]
	v_mov_b32_e32 v43, v29
	v_pk_fma_f32 v[40:41], v[106:107], 2.0, v[36:37] op_sel_hi:[1,0,1] neg_lo:[0,0,1] neg_hi:[0,0,1]
	v_pk_fma_f32 v[34:35], v[34:35], 2.0, v[30:31] op_sel_hi:[1,0,1] neg_lo:[0,0,1] neg_hi:[0,0,1]
	;; [unrolled: 1-line block ×3, first 2 shown]
	v_pk_add_f32 v[36:37], v[38:39], v[30:31] op_sel:[0,1] op_sel_hi:[1,0]
	v_pk_add_f32 v[30:31], v[38:39], v[30:31] op_sel:[0,1] op_sel_hi:[1,0] neg_lo:[0,1] neg_hi:[0,1]
	v_pk_fma_f32 v[18:19], v[18:19], 2.0, v[38:39] op_sel_hi:[1,0,1] neg_lo:[0,0,1] neg_hi:[0,0,1]
	v_mov_b32_e32 v37, v31
	v_pk_fma_f32 v[30:31], v[38:39], 2.0, v[36:37] op_sel_hi:[1,0,1] neg_lo:[0,0,1] neg_hi:[0,0,1]
	v_pk_add_f32 v[32:33], v[40:41], v[32:33] neg_lo:[0,1] neg_hi:[0,1]
	v_pk_add_f32 v[34:35], v[18:19], v[34:35] neg_lo:[0,1] neg_hi:[0,1]
	v_pk_mul_f32 v[38:39], v[30:31], s[0:1] op_sel_hi:[1,0]
	v_pk_fma_f32 v[30:31], v[30:31], s[0:1], v[28:29] op_sel_hi:[1,0,1] neg_lo:[1,0,0] neg_hi:[1,0,0]
	v_pk_fma_f32 v[40:41], v[40:41], 2.0, v[32:33] op_sel_hi:[1,0,1] neg_lo:[0,0,1] neg_hi:[0,0,1]
	v_pk_fma_f32 v[18:19], v[18:19], 2.0, v[34:35] op_sel_hi:[1,0,1] neg_lo:[0,0,1] neg_hi:[0,0,1]
	v_pk_add_f32 v[48:49], v[30:31], v[38:39] op_sel:[0,1] op_sel_hi:[1,0]
	v_pk_add_f32 v[30:31], v[30:31], v[38:39] op_sel:[0,1] op_sel_hi:[1,0] neg_lo:[0,1] neg_hi:[0,1]
	v_pk_add_f32 v[18:19], v[40:41], v[18:19] neg_lo:[0,1] neg_hi:[0,1]
	v_mov_b32_e32 v49, v31
	v_pk_fma_f32 v[40:41], v[40:41], 2.0, v[18:19] op_sel_hi:[1,0,1] neg_lo:[0,0,1] neg_hi:[0,0,1]
	v_pk_fma_f32 v[28:29], v[28:29], 2.0, v[48:49] op_sel_hi:[1,0,1] neg_lo:[0,0,1] neg_hi:[0,0,1]
	v_accvgpr_read_b32 v38, a77
	ds_write2_b64 v38, v[40:41], v[28:29] offset1:10
	v_pk_add_f32 v[28:29], v[32:33], v[34:35] op_sel:[0,1] op_sel_hi:[1,0]
	v_pk_add_f32 v[30:31], v[32:33], v[34:35] op_sel:[0,1] op_sel_hi:[1,0] neg_lo:[0,1] neg_hi:[0,1]
	v_pk_fma_f32 v[34:35], v[36:37], s[0:1], v[42:43] op_sel_hi:[1,0,1]
	v_mov_b32_e32 v29, v31
	v_pk_fma_f32 v[30:31], v[32:33], 2.0, v[28:29] op_sel_hi:[1,0,1] neg_lo:[0,0,1] neg_hi:[0,0,1]
	v_pk_mul_f32 v[32:33], v[36:37], s[0:1] op_sel_hi:[1,0]
	v_mov_b32_e32 v170, v88
	v_pk_add_f32 v[36:37], v[34:35], v[32:33] op_sel:[0,1] op_sel_hi:[1,0]
	v_pk_add_f32 v[32:33], v[34:35], v[32:33] op_sel:[0,1] op_sel_hi:[1,0] neg_lo:[0,1] neg_hi:[0,1]
	v_mov_b32_e32 v171, v88
	v_mov_b32_e32 v37, v33
	;; [unrolled: 1-line block ×69, first 2 shown]
	v_pk_fma_f32 v[32:33], v[42:43], 2.0, v[36:37] op_sel_hi:[1,0,1] neg_lo:[0,0,1] neg_hi:[0,0,1]
	ds_write2_b64 v38, v[30:31], v[32:33] offset0:20 offset1:30
	ds_write2_b64 v38, v[18:19], v[48:49] offset0:40 offset1:50
	;; [unrolled: 1-line block ×3, first 2 shown]
	s_and_saveexec_b64 s[2:3], vcc
	s_cbranch_execz .LBB0_9
; %bb.8:
	s_movk_i32 s1, 0x50
	v_accvgpr_read_b32 v40, a64
	v_mul_u32_u24_sdwa v40, v40, s1 dst_sel:DWORD dst_unused:UNUSED_PAD src0_sel:BYTE_1 src1_sel:DWORD
	v_accvgpr_read_b32 v41, a65
	v_pk_mul_f32 v[28:29], v[6:7], v[100:101] op_sel:[0,1]
	v_accvgpr_read_b32 v38, a72
	v_or_b32_e32 v40, v40, v41
	v_accvgpr_read_b32 v41, a63
	v_accvgpr_read_b32 v39, a73
	v_add_lshl_u32 v42, v41, v40, 3
	v_pk_fma_f32 v[40:41], v[6:7], v[100:101], v[28:29] op_sel:[0,0,1] op_sel_hi:[1,1,0]
	v_pk_fma_f32 v[6:7], v[6:7], v[100:101], v[28:29] op_sel:[0,0,1] op_sel_hi:[1,0,0] neg_lo:[1,0,0] neg_hi:[1,0,0]
	v_accvgpr_read_b32 v28, a68
	v_pk_mul_f32 v[30:31], v[2:3], v[38:39] op_sel:[0,1]
	v_accvgpr_read_b32 v29, a69
	v_mov_b32_e32 v41, v7
	v_pk_fma_f32 v[6:7], v[2:3], v[28:29], v[30:31] op_sel:[0,1,1] op_sel_hi:[1,1,0]
	v_pk_fma_f32 v[2:3], v[2:3], v[28:29], v[30:31] op_sel:[0,1,1] op_sel_hi:[1,1,0] neg_lo:[1,0,0] neg_hi:[1,0,0]
	v_pk_mul_f32 v[18:19], v[10:11], v[96:97] op_sel:[0,1]
	v_accvgpr_read_b32 v48, a66
	v_mov_b32_e32 v7, v3
	v_pk_mul_f32 v[36:37], v[8:9], v[102:103] op_sel:[0,1]
	v_accvgpr_read_b32 v49, a67
	v_pk_add_f32 v[2:3], v[40:41], v[6:7] neg_lo:[0,1] neg_hi:[0,1]
	v_pk_fma_f32 v[6:7], v[10:11], v[96:97], v[18:19] op_sel:[0,0,1] op_sel_hi:[1,1,0]
	v_pk_fma_f32 v[10:11], v[10:11], v[96:97], v[18:19] op_sel:[0,0,1] op_sel_hi:[1,0,0] neg_lo:[1,0,0] neg_hi:[1,0,0]
	v_pk_mul_f32 v[38:39], v[48:49], v[38:39] op_sel_hi:[1,0]
	v_mov_b32_e32 v7, v11
	v_pk_fma_f32 v[10:11], v[8:9], v[102:103], v[36:37] op_sel:[0,0,1] op_sel_hi:[1,1,0]
	v_pk_fma_f32 v[8:9], v[8:9], v[102:103], v[36:37] op_sel:[0,0,1] op_sel_hi:[1,0,0] neg_lo:[1,0,0] neg_hi:[1,0,0]
	v_pk_mul_f32 v[32:33], v[4:5], v[94:95] op_sel:[0,1]
	v_mov_b32_e32 v11, v9
	v_pk_fma_f32 v[8:9], v[48:49], v[28:29], v[38:39] op_sel:[0,0,1] op_sel_hi:[1,1,0]
	v_pk_fma_f32 v[18:19], v[48:49], v[28:29], v[38:39] op_sel:[0,0,1] op_sel_hi:[1,0,0] neg_lo:[1,0,0] neg_hi:[1,0,0]
	v_pk_mul_f32 v[34:35], v[0:1], v[98:99] op_sel:[0,1]
	v_mov_b32_e32 v9, v19
	v_pk_fma_f32 v[18:19], v[4:5], v[94:95], v[32:33] op_sel:[0,0,1] op_sel_hi:[1,1,0]
	v_pk_fma_f32 v[4:5], v[4:5], v[94:95], v[32:33] op_sel:[0,0,1] op_sel_hi:[1,0,0] neg_lo:[1,0,0] neg_hi:[1,0,0]
	v_pk_add_f32 v[6:7], v[92:93], v[6:7] neg_lo:[0,1] neg_hi:[0,1]
	v_mov_b32_e32 v19, v5
	v_pk_fma_f32 v[4:5], v[0:1], v[98:99], v[34:35] op_sel:[0,0,1] op_sel_hi:[1,1,0]
	v_pk_fma_f32 v[0:1], v[0:1], v[98:99], v[34:35] op_sel:[0,0,1] op_sel_hi:[1,0,0] neg_lo:[1,0,0] neg_hi:[1,0,0]
	v_pk_add_f32 v[8:9], v[10:11], v[8:9] neg_lo:[0,1] neg_hi:[0,1]
	v_mov_b32_e32 v5, v1
	v_pk_add_f32 v[0:1], v[18:19], v[4:5] neg_lo:[0,1] neg_hi:[0,1]
	v_pk_fma_f32 v[28:29], v[40:41], 2.0, v[2:3] op_sel_hi:[1,0,1] neg_lo:[0,0,1] neg_hi:[0,0,1]
	v_pk_add_f32 v[30:31], v[6:7], v[2:3] op_sel:[0,1] op_sel_hi:[1,0]
	v_pk_add_f32 v[2:3], v[6:7], v[2:3] op_sel:[0,1] op_sel_hi:[1,0] neg_lo:[0,1] neg_hi:[0,1]
	v_pk_fma_f32 v[10:11], v[10:11], 2.0, v[8:9] op_sel_hi:[1,0,1] neg_lo:[0,0,1] neg_hi:[0,0,1]
	v_mov_b32_e32 v31, v3
	v_pk_add_f32 v[2:3], v[0:1], v[8:9] op_sel:[0,1] op_sel_hi:[1,0]
	v_pk_add_f32 v[8:9], v[0:1], v[8:9] op_sel:[0,1] op_sel_hi:[1,0] neg_lo:[0,1] neg_hi:[0,1]
	v_pk_fma_f32 v[4:5], v[92:93], 2.0, v[6:7] op_sel_hi:[1,0,1] neg_lo:[0,0,1] neg_hi:[0,0,1]
	v_mov_b32_e32 v3, v9
	v_pk_fma_f32 v[18:19], v[18:19], 2.0, v[0:1] op_sel_hi:[1,0,1] neg_lo:[0,0,1] neg_hi:[0,0,1]
	v_pk_fma_f32 v[0:1], v[0:1], 2.0, v[2:3] op_sel_hi:[1,0,1] neg_lo:[0,0,1] neg_hi:[0,0,1]
	;; [unrolled: 1-line block ×3, first 2 shown]
	v_pk_add_f32 v[28:29], v[4:5], v[28:29] neg_lo:[0,1] neg_hi:[0,1]
	v_pk_add_f32 v[10:11], v[18:19], v[10:11] neg_lo:[0,1] neg_hi:[0,1]
	v_pk_mul_f32 v[8:9], v[0:1], s[0:1] op_sel_hi:[1,0]
	v_pk_fma_f32 v[0:1], v[0:1], s[0:1], v[6:7] op_sel_hi:[1,0,1] neg_lo:[1,0,0] neg_hi:[1,0,0]
	v_pk_fma_f32 v[4:5], v[4:5], 2.0, v[28:29] op_sel_hi:[1,0,1] neg_lo:[0,0,1] neg_hi:[0,0,1]
	v_pk_fma_f32 v[18:19], v[18:19], 2.0, v[10:11] op_sel_hi:[1,0,1] neg_lo:[0,0,1] neg_hi:[0,0,1]
	v_pk_add_f32 v[32:33], v[0:1], v[8:9] op_sel:[0,1] op_sel_hi:[1,0]
	v_pk_add_f32 v[0:1], v[0:1], v[8:9] op_sel:[0,1] op_sel_hi:[1,0] neg_lo:[0,1] neg_hi:[0,1]
	v_pk_add_f32 v[18:19], v[4:5], v[18:19] neg_lo:[0,1] neg_hi:[0,1]
	v_mov_b32_e32 v33, v1
	v_pk_fma_f32 v[4:5], v[4:5], 2.0, v[18:19] op_sel_hi:[1,0,1] neg_lo:[0,0,1] neg_hi:[0,0,1]
	v_pk_fma_f32 v[0:1], v[6:7], 2.0, v[32:33] op_sel_hi:[1,0,1] neg_lo:[0,0,1] neg_hi:[0,0,1]
	v_pk_mul_f32 v[6:7], v[2:3], s[0:1] op_sel_hi:[1,0]
	v_pk_fma_f32 v[2:3], v[2:3], s[0:1], v[30:31] op_sel_hi:[1,0,1]
	ds_write2_b64 v42, v[4:5], v[0:1] offset1:10
	v_pk_add_f32 v[0:1], v[28:29], v[10:11] op_sel:[0,1] op_sel_hi:[1,0]
	v_pk_add_f32 v[4:5], v[28:29], v[10:11] op_sel:[0,1] op_sel_hi:[1,0] neg_lo:[0,1] neg_hi:[0,1]
	v_pk_add_f32 v[8:9], v[2:3], v[6:7] op_sel:[0,1] op_sel_hi:[1,0]
	v_pk_add_f32 v[2:3], v[2:3], v[6:7] op_sel:[0,1] op_sel_hi:[1,0] neg_lo:[0,1] neg_hi:[0,1]
	v_mov_b32_e32 v1, v5
	v_mov_b32_e32 v9, v3
	v_pk_fma_f32 v[4:5], v[28:29], 2.0, v[0:1] op_sel_hi:[1,0,1] neg_lo:[0,0,1] neg_hi:[0,0,1]
	v_pk_fma_f32 v[2:3], v[30:31], 2.0, v[8:9] op_sel_hi:[1,0,1] neg_lo:[0,0,1] neg_hi:[0,0,1]
	ds_write2_b64 v42, v[4:5], v[2:3] offset0:20 offset1:30
	ds_write2_b64 v42, v[18:19], v[32:33] offset0:40 offset1:50
	;; [unrolled: 1-line block ×3, first 2 shown]
.LBB0_9:
	s_or_b64 exec, exec, s[2:3]
	s_waitcnt lgkmcnt(0)
	; wave barrier
	s_waitcnt lgkmcnt(0)
	ds_read2_b64 v[34:37], v150 offset0:80 offset1:96
	ds_read2_b64 v[4:7], v150 offset0:144 offset1:160
	v_add_u32_e32 v32, 0x400, v150
	ds_read2_b64 v[38:41], v32 offset0:112 offset1:128
	v_add_u32_e32 v19, 0x800, v150
	ds_read2_b64 v[0:3], v19 offset0:48 offset1:64
	ds_read2_b64 v[48:51], v19 offset0:144 offset1:160
	s_waitcnt lgkmcnt(4)
	v_pk_mul_f32 v[28:29], v[88:89], v[34:35]
	v_accvgpr_read_b32 v106, a62
	v_pk_fma_f32 v[42:43], v[170:171], v[34:35], v[28:29] op_sel:[0,0,1] op_sel_hi:[1,1,0]
	v_pk_fma_f32 v[28:29], v[170:171], v[34:35], v[28:29] op_sel:[0,0,1] op_sel_hi:[1,1,0] neg_lo:[0,0,1] neg_hi:[0,0,1]
	s_waitcnt lgkmcnt(3)
	v_pk_mul_f32 v[34:35], v[90:91], v[6:7]
	v_mad_u64_u32 v[10:11], s[0:1], s6, v106, 0
	v_pk_fma_f32 v[30:31], v[168:169], v[6:7], v[34:35] op_sel:[0,0,1] op_sel_hi:[1,1,0]
	v_pk_fma_f32 v[6:7], v[168:169], v[6:7], v[34:35] op_sel:[0,0,1] op_sel_hi:[1,1,0] neg_lo:[0,0,1] neg_hi:[0,0,1]
	v_mov_b32_e32 v18, v11
	v_mov_b32_e32 v31, v7
	s_waitcnt lgkmcnt(2)
	v_pk_mul_f32 v[6:7], v[84:85], v[38:39]
	v_accvgpr_read_b32 v11, a1
	v_pk_fma_f32 v[34:35], v[166:167], v[38:39], v[6:7] op_sel:[0,0,1] op_sel_hi:[1,1,0]
	v_pk_fma_f32 v[6:7], v[166:167], v[38:39], v[6:7] op_sel:[0,0,1] op_sel_hi:[1,1,0] neg_lo:[0,0,1] neg_hi:[0,0,1]
	s_waitcnt lgkmcnt(1)
	v_pk_mul_f32 v[38:39], v[86:87], v[2:3]
	v_mov_b32_e32 v35, v7
	v_pk_fma_f32 v[6:7], v[164:165], v[2:3], v[38:39] op_sel:[0,0,1] op_sel_hi:[1,1,0]
	v_pk_fma_f32 v[2:3], v[164:165], v[2:3], v[38:39] op_sel:[0,0,1] op_sel_hi:[1,1,0] neg_lo:[0,0,1] neg_hi:[0,0,1]
	s_waitcnt lgkmcnt(0)
	v_pk_mul_f32 v[38:39], v[162:163], v[48:49]
	v_mov_b32_e32 v7, v3
	ds_read_b64 v[2:3], v11
	v_pk_fma_f32 v[52:53], v[228:229], v[48:49], v[38:39] op_sel:[0,0,1] op_sel_hi:[1,1,0]
	v_pk_fma_f32 v[38:39], v[228:229], v[48:49], v[38:39] op_sel:[0,0,1] op_sel_hi:[1,1,0] neg_lo:[0,0,1] neg_hi:[0,0,1]
	ds_read_b64 v[48:49], v150 offset:3712
	v_mov_b32_e32 v53, v39
	s_waitcnt lgkmcnt(1)
	v_pk_add_f32 v[38:39], v[2:3], v[30:31]
	v_mov_b32_e32 v43, v29
	v_pk_add_f32 v[64:65], v[38:39], v[6:7]
	v_pk_add_f32 v[38:39], v[34:35], v[52:53]
	v_mov_b32_e32 v28, v42
	v_fmac_f32_e32 v28, -0.5, v38
	v_pk_add_f32 v[54:55], v[34:35], v[52:53] neg_lo:[0,1] neg_hi:[0,1]
	v_pk_add_f32 v[34:35], v[42:43], v[34:35]
	v_fmac_f32_e32 v29, -0.5, v39
	v_fmamk_f32 v66, v55, 0xbf5db3d7, v28
	v_fmac_f32_e32 v28, 0x3f5db3d7, v55
	v_pk_add_f32 v[84:85], v[34:35], v[52:53]
	v_fmamk_f32 v86, v54, 0x3f5db3d7, v29
	v_fmac_f32_e32 v29, 0xbf5db3d7, v54
	ds_read2_b64 v[52:55], v150 offset0:16 offset1:32
	ds_read2_b64 v[56:59], v150 offset0:176 offset1:192
	ds_read2_b64 v[60:63], v19 offset0:80 offset1:96
	v_pk_mul_f32 v[24:25], v[24:25], v[36:37]
	v_pk_mul_f32 v[20:21], v[20:21], v[40:41]
	v_pk_fma_f32 v[34:35], v[158:159], v[36:37], v[24:25] op_sel:[0,0,1] op_sel_hi:[1,1,0]
	v_pk_fma_f32 v[90:91], v[158:159], v[36:37], v[24:25] op_sel:[0,0,1] op_sel_hi:[1,1,0] neg_lo:[0,0,1] neg_hi:[0,0,1]
	s_waitcnt lgkmcnt(1)
	v_pk_mul_f32 v[24:25], v[26:27], v[56:57]
	v_mov_b32_e32 v35, v91
	v_pk_fma_f32 v[92:93], v[156:157], v[56:57], v[24:25] op_sel:[0,0,1] op_sel_hi:[1,1,0]
	v_pk_fma_f32 v[24:25], v[156:157], v[56:57], v[24:25] op_sel:[0,0,1] op_sel_hi:[1,1,0] neg_lo:[0,0,1] neg_hi:[0,0,1]
	v_pk_mul_f32 v[72:73], v[72:73], v[4:5]
	v_mov_b32_e32 v93, v25
	v_pk_fma_f32 v[24:25], v[154:155], v[40:41], v[20:21] op_sel:[0,0,1] op_sel_hi:[1,1,0]
	v_pk_fma_f32 v[20:21], v[154:155], v[40:41], v[20:21] op_sel:[0,0,1] op_sel_hi:[1,1,0] neg_lo:[0,0,1] neg_hi:[0,0,1]
	s_mov_b32 s2, 0x3f5db3d7
	v_mov_b32_e32 v25, v21
	s_waitcnt lgkmcnt(0)
	v_pk_mul_f32 v[20:21], v[22:23], v[60:61]
	s_mov_b32 s8, 0.5
	v_pk_fma_f32 v[56:57], v[152:153], v[60:61], v[20:21] op_sel:[0,0,1] op_sel_hi:[1,1,0]
	v_pk_fma_f32 v[20:21], v[152:153], v[60:61], v[20:21] op_sel:[0,0,1] op_sel_hi:[1,1,0] neg_lo:[0,0,1] neg_hi:[0,0,1]
	v_mov_b32_e32 v60, v34
	v_mov_b32_e32 v57, v21
	v_accvgpr_read_b32 v20, a70
	v_accvgpr_read_b32 v21, a71
	v_pk_mul_f32 v[20:21], v[20:21], v[50:51]
	s_mov_b32 s9, s2
	v_pk_fma_f32 v[22:23], v[212:213], v[50:51], v[20:21] op_sel:[0,0,1] op_sel_hi:[1,1,0]
	v_pk_fma_f32 v[20:21], v[212:213], v[50:51], v[20:21] op_sel:[0,0,1] op_sel_hi:[1,1,0] neg_lo:[0,0,1] neg_hi:[0,0,1]
	s_mov_b32 s0, -0.5
	v_mov_b32_e32 v23, v21
	v_pk_add_f32 v[20:21], v[52:53], v[92:93]
	v_pk_add_f32 v[26:27], v[24:25], v[22:23] neg_lo:[0,1] neg_hi:[0,1]
	v_pk_add_f32 v[50:51], v[20:21], v[56:57]
	v_pk_add_f32 v[20:21], v[24:25], v[22:23]
	v_pk_add_f32 v[24:25], v[34:35], v[24:25]
	v_fmac_f32_e32 v60, -0.5, v20
	v_pk_add_f32 v[94:95], v[24:25], v[22:23]
	v_fmac_f32_e32 v91, -0.5, v21
	ds_read2_b64 v[20:23], v150 offset0:112 offset1:128
	v_fmamk_f32 v90, v27, 0xbf5db3d7, v60
	v_fmac_f32_e32 v60, 0x3f5db3d7, v27
	v_fmamk_f32 v96, v26, 0x3f5db3d7, v91
	v_fmac_f32_e32 v91, 0xbf5db3d7, v26
	ds_read2_b64 v[24:27], v19 offset0:16 offset1:32
	ds_read2_b64 v[34:37], v19 offset0:176 offset1:192
	s_waitcnt lgkmcnt(2)
	v_pk_mul_f32 v[12:13], v[12:13], v[20:21]
	v_pk_mul_f32 v[80:81], v[80:81], v[22:23]
	v_pk_fma_f32 v[38:39], v[148:149], v[20:21], v[12:13] op_sel:[0,0,1] op_sel_hi:[1,1,0]
	v_pk_fma_f32 v[20:21], v[148:149], v[20:21], v[12:13] op_sel:[0,0,1] op_sel_hi:[1,1,0] neg_lo:[0,0,1] neg_hi:[0,0,1]
	v_pk_mul_f32 v[12:13], v[14:15], v[58:59]
	v_mov_b32_e32 v39, v21
	v_pk_fma_f32 v[100:101], v[254:255], v[58:59], v[12:13] op_sel:[0,0,1] op_sel_hi:[1,1,0]
	v_pk_fma_f32 v[12:13], v[254:255], v[58:59], v[12:13] op_sel:[0,0,1] op_sel_hi:[1,1,0] neg_lo:[0,0,1] neg_hi:[0,0,1]
	v_mov_b32_e32 v20, v38
	v_mov_b32_e32 v101, v13
	s_waitcnt lgkmcnt(1)
	v_pk_mul_f32 v[12:13], v[44:45], v[24:25]
	v_pk_fma_f32 v[104:105], v[246:247], v[22:23], v[80:81] op_sel:[0,0,1] op_sel_hi:[1,1,0]
	v_pk_fma_f32 v[14:15], v[252:253], v[24:25], v[12:13] op_sel:[0,0,1] op_sel_hi:[1,1,0]
	v_pk_fma_f32 v[12:13], v[252:253], v[24:25], v[12:13] op_sel:[0,0,1] op_sel_hi:[1,1,0] neg_lo:[0,0,1] neg_hi:[0,0,1]
	v_pk_fma_f32 v[22:23], v[246:247], v[22:23], v[80:81] op_sel:[0,0,1] op_sel_hi:[1,1,0] neg_lo:[0,0,1] neg_hi:[0,0,1]
	v_mov_b32_e32 v15, v13
	v_pk_mul_f32 v[12:13], v[46:47], v[62:63]
	s_mov_b32 s1, s2
	v_pk_fma_f32 v[24:25], v[250:251], v[62:63], v[12:13] op_sel:[0,0,1] op_sel_hi:[1,1,0]
	v_pk_fma_f32 v[12:13], v[250:251], v[62:63], v[12:13] op_sel:[0,0,1] op_sel_hi:[1,1,0] neg_lo:[0,0,1] neg_hi:[0,0,1]
	v_pk_add_f32 v[88:89], v[64:65], v[84:85]
	v_mov_b32_e32 v25, v13
	s_waitcnt lgkmcnt(0)
	v_pk_mul_f32 v[12:13], v[226:227], v[34:35]
	v_pk_add_f32 v[98:99], v[50:51], v[94:95]
	v_pk_fma_f32 v[40:41], v[248:249], v[34:35], v[12:13] op_sel:[0,0,1] op_sel_hi:[1,1,0]
	v_pk_fma_f32 v[12:13], v[248:249], v[34:35], v[12:13] op_sel:[0,0,1] op_sel_hi:[1,1,0] neg_lo:[0,0,1] neg_hi:[0,0,1]
	v_pk_add_f32 v[64:65], v[64:65], v[84:85] neg_lo:[0,1] neg_hi:[0,1]
	v_mov_b32_e32 v41, v13
	v_pk_add_f32 v[12:13], v[54:55], v[100:101]
	v_pk_add_f32 v[42:43], v[14:15], v[40:41] neg_lo:[0,1] neg_hi:[0,1]
	v_pk_add_f32 v[34:35], v[12:13], v[24:25]
	v_pk_add_f32 v[12:13], v[14:15], v[40:41]
	;; [unrolled: 1-line block ×3, first 2 shown]
	v_fmac_f32_e32 v20, -0.5, v12
	v_fmac_f32_e32 v21, -0.5, v13
	v_fmamk_f32 v46, v43, 0xbf5db3d7, v20
	v_fmac_f32_e32 v20, 0x3f5db3d7, v43
	v_pk_add_f32 v[58:59], v[14:15], v[40:41]
	v_fmamk_f32 v62, v42, 0x3f5db3d7, v21
	v_fmac_f32_e32 v21, 0xbf5db3d7, v42
	ds_read2_b64 v[12:15], v150 offset0:48 offset1:64
	ds_read2_b64 v[38:41], v150 offset0:208 offset1:224
	;; [unrolled: 1-line block ×3, first 2 shown]
	ds_write_b64 v11, v[88:89]
	v_pk_add_f32 v[50:51], v[50:51], v[94:95] neg_lo:[0,1] neg_hi:[0,1]
	v_pk_add_f32 v[102:103], v[34:35], v[58:59]
	s_waitcnt lgkmcnt(2)
	v_pk_mul_f32 v[80:81], v[82:83], v[38:39]
	ds_write2_b64 v32, v[64:65], v[50:51] offset0:112 offset1:128
	v_pk_fma_f32 v[82:83], v[244:245], v[38:39], v[80:81] op_sel:[0,0,1] op_sel_hi:[1,1,0]
	v_pk_fma_f32 v[38:39], v[244:245], v[38:39], v[80:81] op_sel:[0,0,1] op_sel_hi:[1,1,0] neg_lo:[0,0,1] neg_hi:[0,0,1]
	v_pk_fma_f32 v[80:81], v[236:237], v[4:5], v[72:73] op_sel:[0,0,1] op_sel_hi:[1,1,0]
	v_pk_fma_f32 v[4:5], v[236:237], v[4:5], v[72:73] op_sel:[0,0,1] op_sel_hi:[1,1,0] neg_lo:[0,0,1] neg_hi:[0,0,1]
	v_pk_mul_f32 v[72:73], v[74:75], v[40:41]
	v_mov_b32_e32 v83, v39
	v_pk_fma_f32 v[74:75], v[234:235], v[40:41], v[72:73] op_sel:[0,0,1] op_sel_hi:[1,1,0]
	v_pk_fma_f32 v[40:41], v[234:235], v[40:41], v[72:73] op_sel:[0,0,1] op_sel_hi:[1,1,0] neg_lo:[0,0,1] neg_hi:[0,0,1]
	v_pk_mul_f32 v[38:39], v[76:77], v[26:27]
	v_mov_b32_e32 v75, v41
	v_pk_mul_f32 v[40:41], v[68:69], v[0:1]
	v_pk_fma_f32 v[76:77], v[242:243], v[26:27], v[38:39] op_sel:[0,0,1] op_sel_hi:[1,1,0]
	v_pk_fma_f32 v[68:69], v[232:233], v[0:1], v[40:41] op_sel:[0,0,1] op_sel_hi:[1,1,0]
	v_pk_fma_f32 v[0:1], v[232:233], v[0:1], v[40:41] op_sel:[0,0,1] op_sel_hi:[1,1,0] neg_lo:[0,0,1] neg_hi:[0,0,1]
	v_pk_fma_f32 v[26:27], v[242:243], v[26:27], v[38:39] op_sel:[0,0,1] op_sel_hi:[1,1,0] neg_lo:[0,0,1] neg_hi:[0,0,1]
	v_mov_b32_e32 v69, v1
	s_waitcnt lgkmcnt(2)
	v_pk_mul_f32 v[0:1], v[70:71], v[44:45]
	v_pk_add_f32 v[70:71], v[30:31], v[6:7]
	v_pk_add_f32 v[6:7], v[30:31], v[6:7] neg_lo:[0,1] neg_hi:[0,1]
	v_pk_fma_f32 v[2:3], v[70:71], 0.5, v[2:3] op_sel_hi:[1,0,1] neg_lo:[1,0,0] neg_hi:[1,0,0]
	v_pk_mul_f32 v[6:7], v[6:7], s[2:3] op_sel_hi:[1,0]
	s_mov_b32 s3, s8
	v_pk_add_f32 v[30:31], v[2:3], v[6:7] op_sel:[0,1] op_sel_hi:[1,0] neg_lo:[0,1] neg_hi:[0,1]
	v_pk_add_f32 v[2:3], v[2:3], v[6:7] op_sel:[0,1] op_sel_hi:[1,0]
	v_mov_b32_e32 v6, v30
	v_pk_mul_f32 v[70:71], v[86:87], s[2:3] op_sel_hi:[0,1]
	v_mov_b32_e32 v30, v29
	v_pk_fma_f32 v[72:73], v[66:67], s[8:9], v[70:71] neg_lo:[0,0,1] neg_hi:[0,0,1]
	v_pk_fma_f32 v[66:67], v[66:67], s[8:9], v[70:71] op_sel_hi:[0,1,1]
	v_pk_mul_f32 v[70:71], v[30:31], s[2:3] op_sel_hi:[0,1]
	v_mov_b32_e32 v7, v3
	v_pk_fma_f32 v[28:29], v[28:29], s[0:1], v[70:71] op_sel_hi:[0,1,1] neg_lo:[0,0,1] neg_hi:[0,0,1]
	v_mov_b32_e32 v3, v31
	v_pk_add_f32 v[30:31], v[2:3], v[28:29]
	v_pk_add_f32 v[2:3], v[2:3], v[28:29] neg_lo:[0,1] neg_hi:[0,1]
	v_pk_add_f32 v[28:29], v[92:93], v[56:57]
	v_mov_b32_e32 v73, v67
	v_pk_fma_f32 v[28:29], v[28:29], 0.5, v[52:53] op_sel_hi:[1,0,1] neg_lo:[1,0,0] neg_hi:[1,0,0]
	v_pk_add_f32 v[52:53], v[92:93], v[56:57] neg_lo:[0,1] neg_hi:[0,1]
	v_pk_mul_f32 v[70:71], v[96:97], s[2:3] op_sel_hi:[0,1]
	v_pk_mul_f32 v[52:53], v[52:53], s[2:3] op_sel_hi:[1,0]
	v_pk_add_f32 v[66:67], v[6:7], v[72:73]
	v_pk_add_f32 v[6:7], v[6:7], v[72:73] neg_lo:[0,1] neg_hi:[0,1]
	v_pk_add_f32 v[56:57], v[28:29], v[52:53] op_sel:[0,1] op_sel_hi:[1,0] neg_lo:[0,1] neg_hi:[0,1]
	v_pk_add_f32 v[28:29], v[28:29], v[52:53] op_sel:[0,1] op_sel_hi:[1,0]
	v_pk_fma_f32 v[72:73], v[90:91], s[8:9], v[70:71] neg_lo:[0,0,1] neg_hi:[0,0,1]
	v_pk_fma_f32 v[70:71], v[90:91], s[8:9], v[70:71] op_sel_hi:[0,1,1]
	v_mov_b32_e32 v52, v56
	v_mov_b32_e32 v53, v29
	;; [unrolled: 1-line block ×3, first 2 shown]
	v_pk_add_f32 v[70:71], v[52:53], v[72:73]
	v_mov_b32_e32 v56, v91
	ds_write2_b64 v150, v[66:67], v[70:71] offset0:80 offset1:96
	v_pk_mul_f32 v[66:67], v[56:57], s[2:3] op_sel_hi:[0,1]
	v_pk_fma_f32 v[60:61], v[60:61], s[0:1], v[66:67] op_sel_hi:[0,1,1] neg_lo:[0,0,1] neg_hi:[0,0,1]
	v_mov_b32_e32 v29, v57
	v_pk_add_f32 v[56:57], v[28:29], v[60:61]
	v_pk_add_f32 v[28:29], v[28:29], v[60:61] neg_lo:[0,1] neg_hi:[0,1]
	v_mov_b32_e32 v77, v27
	v_pk_mul_f32 v[26:27], v[78:79], v[42:43]
	ds_write2_b64 v19, v[2:3], v[28:29] offset0:144 offset1:160
	ds_write2_b64 v150, v[98:99], v[102:103] offset0:16 offset1:32
	v_pk_add_f32 v[2:3], v[100:101], v[24:25]
	v_pk_add_f32 v[24:25], v[100:101], v[24:25] neg_lo:[0,1] neg_hi:[0,1]
	v_pk_fma_f32 v[38:39], v[240:241], v[42:43], v[26:27] op_sel:[0,0,1] op_sel_hi:[1,1,0]
	v_pk_fma_f32 v[26:27], v[240:241], v[42:43], v[26:27] op_sel:[0,0,1] op_sel_hi:[1,1,0] neg_lo:[0,0,1] neg_hi:[0,0,1]
	v_pk_fma_f32 v[2:3], v[2:3], 0.5, v[54:55] op_sel_hi:[1,0,1] neg_lo:[1,0,0] neg_hi:[1,0,0]
	v_pk_mul_f32 v[24:25], v[24:25], s[2:3] op_sel_hi:[1,0]
	v_mov_b32_e32 v39, v27
	v_pk_mul_f32 v[26:27], v[224:225], v[36:37]
	v_pk_add_f32 v[28:29], v[2:3], v[24:25] op_sel:[0,1] op_sel_hi:[1,0] neg_lo:[0,1] neg_hi:[0,1]
	v_pk_fma_f32 v[42:43], v[238:239], v[36:37], v[26:27] op_sel:[0,0,1] op_sel_hi:[1,1,0]
	v_pk_fma_f32 v[26:27], v[238:239], v[36:37], v[26:27] op_sel:[0,0,1] op_sel_hi:[1,1,0] neg_lo:[0,0,1] neg_hi:[0,0,1]
	v_pk_add_f32 v[50:51], v[52:53], v[72:73] neg_lo:[0,1] neg_hi:[0,1]
	v_pk_add_f32 v[2:3], v[2:3], v[24:25] op_sel:[0,1] op_sel_hi:[1,0]
	v_mov_b32_e32 v24, v28
	v_pk_mul_f32 v[52:53], v[62:63], s[2:3] op_sel_hi:[0,1]
	v_mov_b32_e32 v28, v21
	v_mov_b32_e32 v43, v27
	v_pk_fma_f32 v[54:55], v[46:47], s[8:9], v[52:53] neg_lo:[0,0,1] neg_hi:[0,0,1]
	v_pk_fma_f32 v[46:47], v[46:47], s[8:9], v[52:53] op_sel_hi:[0,1,1]
	v_pk_mul_f32 v[52:53], v[28:29], s[2:3] op_sel_hi:[0,1]
	v_mov_b32_e32 v105, v23
	v_pk_add_f32 v[36:37], v[76:77], v[42:43]
	v_mov_b32_e32 v25, v3
	v_pk_fma_f32 v[20:21], v[20:21], s[0:1], v[52:53] op_sel_hi:[0,1,1] neg_lo:[0,0,1] neg_hi:[0,0,1]
	v_mov_b32_e32 v3, v29
	v_mov_b32_e32 v22, v104
	v_pk_add_f32 v[78:79], v[76:77], v[42:43] neg_lo:[0,1] neg_hi:[0,1]
	v_pk_add_f32 v[76:77], v[104:105], v[76:77]
	v_fmac_f32_e32 v23, -0.5, v37
	v_pk_add_f32 v[28:29], v[2:3], v[20:21]
	v_pk_add_f32 v[2:3], v[2:3], v[20:21] neg_lo:[0,1] neg_hi:[0,1]
	v_pk_add_f32 v[20:21], v[82:83], v[38:39]
	v_pk_add_f32 v[26:27], v[12:13], v[82:83]
	v_fmac_f32_e32 v22, -0.5, v36
	v_pk_add_f32 v[42:43], v[76:77], v[42:43]
	v_fmamk_f32 v76, v78, 0x3f5db3d7, v23
	v_pk_fma_f32 v[40:41], v[230:231], v[44:45], v[0:1] op_sel:[0,0,1] op_sel_hi:[1,1,0]
	v_pk_fma_f32 v[0:1], v[230:231], v[44:45], v[0:1] op_sel:[0,0,1] op_sel_hi:[1,1,0] neg_lo:[0,0,1] neg_hi:[0,0,1]
	v_mov_b32_e32 v55, v47
	v_pk_fma_f32 v[12:13], v[20:21], 0.5, v[12:13] op_sel_hi:[1,0,1] neg_lo:[1,0,0] neg_hi:[1,0,0]
	v_pk_add_f32 v[20:21], v[82:83], v[38:39] neg_lo:[0,1] neg_hi:[0,1]
	v_fmamk_f32 v36, v79, 0xbf5db3d7, v22
	v_mov_b32_e32 v41, v1
	v_accvgpr_read_b32 v0, a74
	v_pk_add_f32 v[46:47], v[24:25], v[54:55]
	ds_write2_b64 v150, v[56:57], v[28:29] offset0:176 offset1:192
	v_pk_add_f32 v[28:29], v[34:35], v[58:59] neg_lo:[0,1] neg_hi:[0,1]
	v_pk_add_f32 v[24:25], v[24:25], v[54:55] neg_lo:[0,1] neg_hi:[0,1]
	v_pk_mul_f32 v[20:21], v[20:21], s[2:3] op_sel_hi:[1,0]
	v_pk_mul_f32 v[34:35], v[76:77], s[2:3] op_sel_hi:[0,1]
	v_pk_add_f32 v[26:27], v[26:27], v[38:39]
	v_accvgpr_read_b32 v1, a75
	ds_write2_b64 v19, v[50:51], v[24:25] offset0:80 offset1:96
	v_pk_add_f32 v[24:25], v[12:13], v[20:21] op_sel:[0,1] op_sel_hi:[1,0] neg_lo:[0,1] neg_hi:[0,1]
	v_pk_add_f32 v[12:13], v[12:13], v[20:21] op_sel:[0,1] op_sel_hi:[1,0]
	v_pk_fma_f32 v[38:39], v[36:37], s[8:9], v[34:35] neg_lo:[0,0,1] neg_hi:[0,0,1]
	v_pk_fma_f32 v[34:35], v[36:37], s[8:9], v[34:35] op_sel_hi:[0,1,1]
	v_fmac_f32_e32 v23, 0xbf5db3d7, v78
	v_pk_mul_f32 v[0:1], v[0:1], v[48:49]
	v_mov_b32_e32 v20, v24
	v_mov_b32_e32 v21, v13
	;; [unrolled: 1-line block ×3, first 2 shown]
	v_pk_fma_f32 v[44:45], v[16:17], v[48:49], v[0:1] op_sel:[0,0,1] op_sel_hi:[1,1,0]
	v_pk_fma_f32 v[0:1], v[16:17], v[48:49], v[0:1] op_sel:[0,0,1] op_sel_hi:[1,1,0] neg_lo:[0,0,1] neg_hi:[0,0,1]
	v_pk_add_f32 v[34:35], v[20:21], v[38:39]
	v_mov_b32_e32 v24, v23
	v_fmac_f32_e32 v22, 0x3f5db3d7, v79
	v_mov_b32_e32 v81, v5
	v_mov_b32_e32 v45, v1
	ds_write2_b64 v150, v[46:47], v[34:35] offset0:112 offset1:128
	v_pk_mul_f32 v[34:35], v[24:25], s[2:3] op_sel_hi:[0,1]
	v_pk_add_f32 v[0:1], v[14:15], v[74:75]
	v_pk_add_f32 v[16:17], v[68:69], v[44:45]
	v_mov_b32_e32 v4, v80
	v_pk_add_f32 v[48:49], v[68:69], v[44:45] neg_lo:[0,1] neg_hi:[0,1]
	v_pk_add_f32 v[68:69], v[80:81], v[68:69]
	v_pk_fma_f32 v[22:23], v[22:23], s[0:1], v[34:35] op_sel_hi:[0,1,1] neg_lo:[0,0,1] neg_hi:[0,0,1]
	v_mov_b32_e32 v13, v25
	v_pk_add_f32 v[78:79], v[26:27], v[42:43]
	v_pk_add_f32 v[0:1], v[0:1], v[40:41]
	v_fmac_f32_e32 v4, -0.5, v16
	v_pk_add_f32 v[44:45], v[68:69], v[44:45]
	v_fmac_f32_e32 v5, -0.5, v17
	v_pk_add_f32 v[24:25], v[12:13], v[22:23]
	v_pk_add_f32 v[26:27], v[26:27], v[42:43] neg_lo:[0,1] neg_hi:[0,1]
	v_pk_add_f32 v[12:13], v[12:13], v[22:23] neg_lo:[0,1] neg_hi:[0,1]
	v_fmamk_f32 v16, v49, 0xbf5db3d7, v4
	v_fmac_f32_e32 v4, 0x3f5db3d7, v49
	v_fmamk_f32 v68, v48, 0x3f5db3d7, v5
	v_fmac_f32_e32 v5, 0xbf5db3d7, v48
	v_pk_add_f32 v[48:49], v[0:1], v[44:45]
	ds_write2_b64 v19, v[28:29], v[26:27] offset0:16 offset1:32
	ds_write2_b64 v19, v[2:3], v[12:13] offset0:176 offset1:192
	;; [unrolled: 1-line block ×3, first 2 shown]
	v_pk_add_f32 v[2:3], v[74:75], v[40:41]
	v_pk_add_f32 v[12:13], v[74:75], v[40:41] neg_lo:[0,1] neg_hi:[0,1]
	v_pk_fma_f32 v[2:3], v[2:3], 0.5, v[14:15] op_sel_hi:[1,0,1] neg_lo:[1,0,0] neg_hi:[1,0,0]
	v_pk_mul_f32 v[12:13], v[12:13], s[2:3] op_sel_hi:[1,0]
	v_pk_mul_f32 v[22:23], v[68:69], s[2:3] op_sel_hi:[0,1]
	v_pk_add_f32 v[14:15], v[2:3], v[12:13] op_sel:[0,1] op_sel_hi:[1,0] neg_lo:[0,1] neg_hi:[0,1]
	v_pk_add_f32 v[2:3], v[2:3], v[12:13] op_sel:[0,1] op_sel_hi:[1,0]
	v_pk_fma_f32 v[26:27], v[16:17], s[8:9], v[22:23] neg_lo:[0,0,1] neg_hi:[0,0,1]
	v_pk_fma_f32 v[16:17], v[16:17], s[8:9], v[22:23] op_sel_hi:[0,1,1]
	v_mov_b32_e32 v12, v14
	v_mov_b32_e32 v13, v3
	;; [unrolled: 1-line block ×3, first 2 shown]
	v_pk_add_f32 v[16:17], v[12:13], v[26:27]
	v_mov_b32_e32 v14, v5
	ds_write2_b64 v150, v[16:17], v[30:31] offset0:144 offset1:160
	v_pk_mul_f32 v[16:17], v[14:15], s[2:3] op_sel_hi:[0,1]
	v_pk_add_f32 v[0:1], v[0:1], v[44:45] neg_lo:[0,1] neg_hi:[0,1]
	v_pk_add_f32 v[20:21], v[20:21], v[38:39] neg_lo:[0,1] neg_hi:[0,1]
	v_pk_fma_f32 v[4:5], v[4:5], s[0:1], v[16:17] op_sel_hi:[0,1,1] neg_lo:[0,0,1] neg_hi:[0,0,1]
	v_mov_b32_e32 v3, v15
	ds_write2_b64 v19, v[0:1], v[6:7] offset0:48 offset1:64
	v_pk_add_f32 v[0:1], v[12:13], v[26:27] neg_lo:[0,1] neg_hi:[0,1]
	v_pk_add_f32 v[14:15], v[2:3], v[4:5]
	ds_write2_b64 v19, v[20:21], v[0:1] offset0:112 offset1:128
	v_pk_add_f32 v[0:1], v[2:3], v[4:5] neg_lo:[0,1] neg_hi:[0,1]
	ds_write2_b64 v150, v[24:25], v[14:15] offset0:208 offset1:224
	ds_write_b64 v150, v[0:1] offset:3712
	s_waitcnt lgkmcnt(0)
	; wave barrier
	s_waitcnt lgkmcnt(0)
	ds_read_b64 v[0:1], v11
	ds_read_b64 v[12:13], v150 offset:3712
	v_mad_u64_u32 v[2:3], s[0:1], s7, v106, v[18:19]
	v_accvgpr_read_b32 v5, a3
	v_mov_b32_e32 v11, v2
	v_accvgpr_read_b32 v4, a2
	s_waitcnt lgkmcnt(1)
	v_mul_f32_e32 v2, v5, v1
	v_fmac_f32_e32 v2, v4, v0
	v_mul_f32_e32 v0, v5, v0
	s_mov_b32 s0, 0x11111111
	v_fma_f32 v0, v4, v1, -v0
	v_cvt_f64_f32_e32 v[2:3], v2
	s_mov_b32 s1, 0x3f611111
	v_cvt_f64_f32_e32 v[0:1], v0
	v_mul_f64 v[2:3], v[2:3], s[0:1]
	v_mul_f64 v[0:1], v[0:1], s[0:1]
	v_accvgpr_read_b32 v5, a0
	v_cvt_f32_f64_e32 v2, v[2:3]
	v_cvt_f32_f64_e32 v3, v[0:1]
	v_mad_u64_u32 v[0:1], s[2:3], s4, v5, 0
	v_mov_b32_e32 v4, v1
	v_mov_b32_e32 v8, s14
	;; [unrolled: 1-line block ×3, first 2 shown]
	v_mad_u64_u32 v[4:5], s[2:3], s5, v5, v[4:5]
	ds_read2_b64 v[14:17], v150 offset0:48 offset1:64
	v_mov_b32_e32 v1, v4
	v_lshl_add_u64 v[4:5], v[10:11], 3, v[8:9]
	v_lshl_add_u64 v[4:5], v[0:1], 3, v[4:5]
	global_store_dwordx2 v[4:5], v[2:3], off
	v_accvgpr_read_b32 v2, a14
	v_accvgpr_read_b32 v3, a15
	s_waitcnt lgkmcnt(0)
	v_mul_f32_e32 v0, v3, v15
	v_fmac_f32_e32 v0, v2, v14
	v_cvt_f64_f32_e32 v[0:1], v0
	v_mul_f64 v[0:1], v[0:1], s[0:1]
	v_cvt_f32_f64_e32 v6, v[0:1]
	v_mul_f32_e32 v0, v3, v14
	v_fma_f32 v0, v2, v15, -v0
	v_cvt_f64_f32_e32 v[0:1], v0
	v_mul_f64 v[0:1], v[0:1], s[0:1]
	v_cvt_f32_f64_e32 v7, v[0:1]
	ds_read2_b64 v[0:3], v150 offset0:80 offset1:96
	v_mov_b32_e32 v36, 0x180
	v_mad_u64_u32 v[4:5], s[2:3], s4, v36, v[4:5]
	s_mul_i32 s2, s5, 0x180
	v_accvgpr_read_b32 v8, a8
	v_add_u32_e32 v5, s2, v5
	v_accvgpr_read_b32 v9, a9
	global_store_dwordx2 v[4:5], v[6:7], off
	s_waitcnt lgkmcnt(0)
	v_mul_f32_e32 v6, v9, v3
	v_fmac_f32_e32 v6, v8, v2
	v_mul_f32_e32 v2, v9, v2
	v_fma_f32 v2, v8, v3, -v2
	ds_read2_b64 v[8:11], v150 offset0:144 offset1:160
	v_cvt_f64_f32_e32 v[6:7], v6
	v_cvt_f64_f32_e32 v[2:3], v2
	v_mad_u64_u32 v[14:15], s[6:7], s4, v36, v[4:5]
	v_accvgpr_read_b32 v4, a10
	v_mul_f64 v[6:7], v[6:7], s[0:1]
	v_mul_f64 v[2:3], v[2:3], s[0:1]
	v_accvgpr_read_b32 v5, a11
	v_cvt_f32_f64_e32 v6, v[6:7]
	v_cvt_f32_f64_e32 v7, v[2:3]
	s_waitcnt lgkmcnt(0)
	v_mul_f32_e32 v2, v5, v9
	v_fmac_f32_e32 v2, v4, v8
	v_cvt_f64_f32_e32 v[2:3], v2
	v_add_u32_e32 v15, s2, v15
	v_mul_f64 v[2:3], v[2:3], s[0:1]
	global_store_dwordx2 v[14:15], v[6:7], off
	v_cvt_f32_f64_e32 v6, v[2:3]
	v_mul_f32_e32 v2, v5, v8
	v_fma_f32 v2, v4, v9, -v2
	v_cvt_f64_f32_e32 v[2:3], v2
	v_mul_f64 v[2:3], v[2:3], s[0:1]
	v_cvt_f32_f64_e32 v7, v[2:3]
	ds_read2_b64 v[2:5], v150 offset0:176 offset1:192
	v_mad_u64_u32 v[8:9], s[6:7], s4, v36, v[14:15]
	v_add_u32_e32 v9, s2, v9
	v_accvgpr_read_b32 v15, a13
	global_store_dwordx2 v[8:9], v[6:7], off
	v_accvgpr_read_b32 v14, a12
	s_waitcnt lgkmcnt(0)
	v_mul_f32_e32 v6, v15, v5
	v_fmac_f32_e32 v6, v14, v4
	v_mul_f32_e32 v4, v15, v4
	v_fma_f32 v4, v14, v5, -v4
	ds_read2_b64 v[20:23], v32 offset0:112 offset1:128
	v_cvt_f64_f32_e32 v[6:7], v6
	v_cvt_f64_f32_e32 v[4:5], v4
	v_mul_f64 v[6:7], v[6:7], s[0:1]
	v_mul_f64 v[4:5], v[4:5], s[0:1]
	v_mad_u64_u32 v[8:9], s[6:7], s4, v36, v[8:9]
	v_cvt_f32_f64_e32 v6, v[6:7]
	v_cvt_f32_f64_e32 v7, v[4:5]
	v_add_u32_e32 v9, s2, v9
	global_store_dwordx2 v[8:9], v[6:7], off
	v_accvgpr_read_b32 v7, a5
	v_accvgpr_read_b32 v6, a4
	s_waitcnt lgkmcnt(0)
	v_mul_f32_e32 v4, v7, v21
	v_fmac_f32_e32 v4, v6, v20
	v_cvt_f64_f32_e32 v[4:5], v4
	v_mul_f64 v[4:5], v[4:5], s[0:1]
	v_cvt_f32_f64_e32 v14, v[4:5]
	v_mul_f32_e32 v4, v7, v20
	v_fma_f32 v4, v6, v21, -v4
	v_cvt_f64_f32_e32 v[4:5], v4
	v_mul_f64 v[4:5], v[4:5], s[0:1]
	v_cvt_f32_f64_e32 v15, v[4:5]
	ds_read2_b64 v[4:7], v19 offset0:16 offset1:32
	v_mad_u64_u32 v[8:9], s[6:7], s4, v36, v[8:9]
	v_add_u32_e32 v9, s2, v9
	v_accvgpr_read_b32 v21, a7
	global_store_dwordx2 v[8:9], v[14:15], off
	v_accvgpr_read_b32 v20, a6
	s_waitcnt lgkmcnt(0)
	v_mul_f32_e32 v14, v21, v7
	ds_read2_b64 v[24:27], v19 offset0:80 offset1:96
	v_fmac_f32_e32 v14, v20, v6
	v_mul_f32_e32 v6, v21, v6
	v_fma_f32 v6, v20, v7, -v6
	v_cvt_f64_f32_e32 v[14:15], v14
	v_cvt_f64_f32_e32 v[6:7], v6
	v_mad_u64_u32 v[20:21], s[6:7], s4, v36, v[8:9]
	v_accvgpr_read_b32 v8, a16
	v_mul_f64 v[14:15], v[14:15], s[0:1]
	v_mul_f64 v[6:7], v[6:7], s[0:1]
	v_accvgpr_read_b32 v9, a17
	v_cvt_f32_f64_e32 v14, v[14:15]
	v_cvt_f32_f64_e32 v15, v[6:7]
	s_waitcnt lgkmcnt(0)
	v_mul_f32_e32 v6, v9, v25
	v_fmac_f32_e32 v6, v8, v24
	v_cvt_f64_f32_e32 v[6:7], v6
	v_add_u32_e32 v21, s2, v21
	v_mul_f64 v[6:7], v[6:7], s[0:1]
	global_store_dwordx2 v[20:21], v[14:15], off
	v_cvt_f32_f64_e32 v14, v[6:7]
	v_mul_f32_e32 v6, v9, v24
	v_fma_f32 v6, v8, v25, -v6
	v_cvt_f64_f32_e32 v[6:7], v6
	v_mul_f64 v[6:7], v[6:7], s[0:1]
	v_cvt_f32_f64_e32 v15, v[6:7]
	ds_read2_b64 v[6:9], v19 offset0:112 offset1:128
	v_mad_u64_u32 v[20:21], s[6:7], s4, v36, v[20:21]
	v_accvgpr_read_b32 v24, a28
	v_add_u32_e32 v21, s2, v21
	v_accvgpr_read_b32 v25, a29
	global_store_dwordx2 v[20:21], v[14:15], off
	s_waitcnt lgkmcnt(0)
	v_mul_f32_e32 v14, v25, v9
	v_fmac_f32_e32 v14, v24, v8
	v_mul_f32_e32 v8, v25, v8
	v_fma_f32 v8, v24, v9, -v8
	ds_read2_b64 v[28:31], v19 offset0:176 offset1:192
	v_cvt_f64_f32_e32 v[14:15], v14
	v_cvt_f64_f32_e32 v[8:9], v8
	v_mul_f64 v[14:15], v[14:15], s[0:1]
	v_mul_f64 v[8:9], v[8:9], s[0:1]
	v_cvt_f32_f64_e32 v14, v[14:15]
	v_cvt_f32_f64_e32 v15, v[8:9]
	v_mad_u64_u32 v[8:9], s[6:7], s4, v36, v[20:21]
	v_accvgpr_read_b32 v20, a20
	v_add_u32_e32 v9, s2, v9
	v_accvgpr_read_b32 v21, a21
	global_store_dwordx2 v[8:9], v[14:15], off
	s_waitcnt lgkmcnt(0)
	v_mul_f32_e32 v14, v21, v29
	v_fmac_f32_e32 v14, v20, v28
	v_cvt_f64_f32_e32 v[14:15], v14
	v_mul_f64 v[14:15], v[14:15], s[0:1]
	v_cvt_f32_f64_e32 v14, v[14:15]
	v_mul_f32_e32 v15, v21, v28
	ds_read2_b64 v[32:35], v150 offset0:16 offset1:32
	v_fma_f32 v15, v20, v29, -v15
	v_cvt_f64_f32_e32 v[20:21], v15
	v_mul_f64 v[20:21], v[20:21], s[0:1]
	v_mad_u64_u32 v[8:9], s[6:7], s4, v36, v[8:9]
	v_cvt_f32_f64_e32 v15, v[20:21]
	v_add_u32_e32 v9, s2, v9
	v_accvgpr_read_b32 v21, a19
	global_store_dwordx2 v[8:9], v[14:15], off
	v_accvgpr_read_b32 v20, a18
	s_waitcnt lgkmcnt(0)
	v_mul_f32_e32 v14, v21, v33
	v_fmac_f32_e32 v14, v20, v32
	v_cvt_f64_f32_e32 v[14:15], v14
	v_mul_f64 v[14:15], v[14:15], s[0:1]
	v_cvt_f32_f64_e32 v14, v[14:15]
	v_mul_f32_e32 v15, v21, v32
	v_fma_f32 v15, v20, v33, -v15
	v_cvt_f64_f32_e32 v[20:21], v15
	v_mov_b32_e32 v24, 0xfffff300
	s_mul_i32 s3, s5, 0xfffff300
	v_mul_f64 v[20:21], v[20:21], s[0:1]
	v_mad_u64_u32 v[8:9], s[6:7], s4, v24, v[8:9]
	s_sub_i32 s3, s3, s4
	v_cvt_f32_f64_e32 v15, v[20:21]
	v_add_u32_e32 v9, s3, v9
	v_accvgpr_read_b32 v29, a23
	global_store_dwordx2 v[8:9], v[14:15], off
	v_accvgpr_read_b32 v28, a22
	v_mul_f32_e32 v14, v29, v17
	v_fmac_f32_e32 v14, v28, v16
	v_cvt_f64_f32_e32 v[14:15], v14
	v_mul_f64 v[14:15], v[14:15], s[0:1]
	v_cvt_f32_f64_e32 v20, v[14:15]
	v_mul_f32_e32 v14, v29, v16
	v_fma_f32 v14, v28, v17, -v14
	v_cvt_f64_f32_e32 v[14:15], v14
	v_mul_f64 v[14:15], v[14:15], s[0:1]
	v_cvt_f32_f64_e32 v21, v[14:15]
	ds_read2_b64 v[14:17], v150 offset0:112 offset1:128
	v_accvgpr_read_b32 v29, a25
	v_accvgpr_read_b32 v28, a24
	v_mad_u64_u32 v[8:9], s[6:7], s4, v36, v[8:9]
	s_waitcnt lgkmcnt(0)
	v_mul_f32_e32 v18, v29, v15
	v_fmac_f32_e32 v18, v28, v14
	v_mul_f32_e32 v14, v29, v14
	v_add_u32_e32 v9, s2, v9
	v_fma_f32 v14, v28, v15, -v14
	global_store_dwordx2 v[8:9], v[20:21], off
	v_cvt_f64_f32_e32 v[20:21], v18
	v_cvt_f64_f32_e32 v[14:15], v14
	v_accvgpr_read_b32 v28, a46
	v_mul_f64 v[20:21], v[20:21], s[0:1]
	v_mul_f64 v[14:15], v[14:15], s[0:1]
	v_accvgpr_read_b32 v29, a47
	v_cvt_f32_f64_e32 v20, v[20:21]
	v_cvt_f32_f64_e32 v21, v[14:15]
	v_mad_u64_u32 v[14:15], s[6:7], s4, v36, v[8:9]
	v_mul_f32_e32 v8, v29, v11
	v_fmac_f32_e32 v8, v28, v10
	v_cvt_f64_f32_e32 v[8:9], v8
	v_add_u32_e32 v15, s2, v15
	v_mul_f64 v[8:9], v[8:9], s[0:1]
	global_store_dwordx2 v[14:15], v[20:21], off
	v_cvt_f32_f64_e32 v20, v[8:9]
	v_mul_f32_e32 v8, v29, v10
	v_fma_f32 v8, v28, v11, -v8
	v_cvt_f64_f32_e32 v[8:9], v8
	v_mul_f64 v[8:9], v[8:9], s[0:1]
	v_cvt_f32_f64_e32 v21, v[8:9]
	ds_read2_b64 v[8:11], v150 offset0:208 offset1:224
	v_accvgpr_read_b32 v28, a50
	v_accvgpr_read_b32 v29, a51
	v_mad_u64_u32 v[14:15], s[6:7], s4, v36, v[14:15]
	s_waitcnt lgkmcnt(0)
	v_mul_f32_e32 v18, v29, v9
	v_fmac_f32_e32 v18, v28, v8
	v_mul_f32_e32 v8, v29, v8
	v_add_u32_e32 v15, s2, v15
	v_fma_f32 v8, v28, v9, -v8
	global_store_dwordx2 v[14:15], v[20:21], off
	v_cvt_f64_f32_e32 v[20:21], v18
	v_cvt_f64_f32_e32 v[8:9], v8
	v_mul_f64 v[20:21], v[20:21], s[0:1]
	v_mul_f64 v[8:9], v[8:9], s[0:1]
	v_cvt_f32_f64_e32 v20, v[20:21]
	v_cvt_f32_f64_e32 v21, v[8:9]
	v_mad_u64_u32 v[8:9], s[6:7], s4, v36, v[14:15]
	v_add_u32_e32 v9, s2, v9
	global_store_dwordx2 v[8:9], v[20:21], off
	v_accvgpr_read_b32 v20, a56
	v_accvgpr_read_b32 v21, a57
	v_mul_f32_e32 v14, v21, v23
	v_fmac_f32_e32 v14, v20, v22
	v_cvt_f64_f32_e32 v[14:15], v14
	v_mul_f64 v[14:15], v[14:15], s[0:1]
	v_cvt_f32_f64_e32 v14, v[14:15]
	v_mul_f32_e32 v15, v21, v22
	v_fma_f32 v15, v20, v23, -v15
	v_cvt_f64_f32_e32 v[20:21], v15
	v_mul_f64 v[20:21], v[20:21], s[0:1]
	v_cvt_f32_f64_e32 v15, v[20:21]
	ds_read2_b64 v[20:23], v19 offset0:48 offset1:64
	v_mad_u64_u32 v[8:9], s[6:7], s4, v36, v[8:9]
	v_accvgpr_read_b32 v28, a52
	v_add_u32_e32 v9, s2, v9
	v_accvgpr_read_b32 v29, a53
	global_store_dwordx2 v[8:9], v[14:15], off
	s_waitcnt lgkmcnt(0)
	v_mul_f32_e32 v14, v29, v21
	v_fmac_f32_e32 v14, v28, v20
	v_cvt_f64_f32_e32 v[14:15], v14
	v_mul_f64 v[14:15], v[14:15], s[0:1]
	v_cvt_f32_f64_e32 v14, v[14:15]
	v_mul_f32_e32 v15, v29, v20
	v_fma_f32 v15, v28, v21, -v15
	v_cvt_f64_f32_e32 v[20:21], v15
	v_mul_f64 v[20:21], v[20:21], s[0:1]
	v_cvt_f32_f64_e32 v15, v[20:21]
	v_mad_u64_u32 v[8:9], s[6:7], s4, v36, v[8:9]
	v_accvgpr_read_b32 v20, a54
	v_add_u32_e32 v9, s2, v9
	v_accvgpr_read_b32 v21, a55
	global_store_dwordx2 v[8:9], v[14:15], off
	v_mul_f32_e32 v14, v21, v27
	v_fmac_f32_e32 v14, v20, v26
	v_cvt_f64_f32_e32 v[14:15], v14
	v_mul_f64 v[14:15], v[14:15], s[0:1]
	v_cvt_f32_f64_e32 v14, v[14:15]
	v_mul_f32_e32 v15, v21, v26
	v_fma_f32 v15, v20, v27, -v15
	v_cvt_f64_f32_e32 v[20:21], v15
	v_mul_f64 v[20:21], v[20:21], s[0:1]
	v_cvt_f32_f64_e32 v15, v[20:21]
	ds_read2_b64 v[18:21], v19 offset0:144 offset1:160
	v_mad_u64_u32 v[8:9], s[6:7], s4, v36, v[8:9]
	v_accvgpr_read_b32 v26, a58
	v_add_u32_e32 v9, s2, v9
	v_accvgpr_read_b32 v27, a59
	global_store_dwordx2 v[8:9], v[14:15], off
	s_waitcnt lgkmcnt(0)
	v_mul_f32_e32 v14, v27, v19
	v_fmac_f32_e32 v14, v26, v18
	v_cvt_f64_f32_e32 v[14:15], v14
	v_mul_f64 v[14:15], v[14:15], s[0:1]
	v_cvt_f32_f64_e32 v14, v[14:15]
	v_mul_f32_e32 v15, v27, v18
	v_fma_f32 v15, v26, v19, -v15
	v_cvt_f64_f32_e32 v[18:19], v15
	v_mul_f64 v[18:19], v[18:19], s[0:1]
	v_cvt_f32_f64_e32 v15, v[18:19]
	v_mad_u64_u32 v[8:9], s[6:7], s4, v36, v[8:9]
	v_accvgpr_read_b32 v18, a60
	v_add_u32_e32 v9, s2, v9
	v_accvgpr_read_b32 v19, a61
	global_store_dwordx2 v[8:9], v[14:15], off
	v_mul_f32_e32 v14, v19, v31
	v_fmac_f32_e32 v14, v18, v30
	v_cvt_f64_f32_e32 v[14:15], v14
	v_mul_f64 v[14:15], v[14:15], s[0:1]
	v_cvt_f32_f64_e32 v14, v[14:15]
	v_mul_f32_e32 v15, v19, v30
	v_fma_f32 v15, v18, v31, -v15
	v_cvt_f64_f32_e32 v[18:19], v15
	v_mul_f64 v[18:19], v[18:19], s[0:1]
	v_cvt_f32_f64_e32 v15, v[18:19]
	v_mad_u64_u32 v[8:9], s[6:7], s4, v36, v[8:9]
	v_accvgpr_read_b32 v18, a26
	v_add_u32_e32 v9, s2, v9
	v_accvgpr_read_b32 v19, a27
	global_store_dwordx2 v[8:9], v[14:15], off
	;; [unrolled: 15-line block ×3, first 2 shown]
	v_mul_f32_e32 v14, v19, v1
	v_fmac_f32_e32 v14, v18, v0
	v_mul_f32_e32 v0, v19, v0
	v_fma_f32 v0, v18, v1, -v0
	v_cvt_f64_f32_e32 v[14:15], v14
	v_cvt_f64_f32_e32 v[0:1], v0
	v_mul_f64 v[14:15], v[14:15], s[0:1]
	v_mul_f64 v[0:1], v[0:1], s[0:1]
	v_cvt_f32_f64_e32 v14, v[14:15]
	v_cvt_f32_f64_e32 v15, v[0:1]
	v_mad_u64_u32 v[0:1], s[6:7], s4, v36, v[8:9]
	v_add_u32_e32 v1, s2, v1
	global_store_dwordx2 v[0:1], v[14:15], off
	v_accvgpr_read_b32 v14, a36
	v_accvgpr_read_b32 v15, a37
	v_mul_f32_e32 v8, v15, v17
	v_fmac_f32_e32 v8, v14, v16
	v_cvt_f64_f32_e32 v[8:9], v8
	v_mul_f64 v[8:9], v[8:9], s[0:1]
	v_cvt_f32_f64_e32 v8, v[8:9]
	v_mul_f32_e32 v9, v15, v16
	v_fma_f32 v9, v14, v17, -v9
	v_cvt_f64_f32_e32 v[14:15], v9
	v_mul_f64 v[14:15], v[14:15], s[0:1]
	v_cvt_f32_f64_e32 v9, v[14:15]
	v_mad_u64_u32 v[0:1], s[6:7], s4, v36, v[0:1]
	v_accvgpr_read_b32 v14, a32
	v_add_u32_e32 v1, s2, v1
	v_accvgpr_read_b32 v15, a33
	global_store_dwordx2 v[0:1], v[8:9], off
	v_mul_f32_e32 v8, v15, v3
	v_fmac_f32_e32 v8, v14, v2
	v_mul_f32_e32 v2, v15, v2
	v_fma_f32 v2, v14, v3, -v2
	v_cvt_f64_f32_e32 v[8:9], v8
	v_cvt_f64_f32_e32 v[2:3], v2
	v_mul_f64 v[8:9], v[8:9], s[0:1]
	v_mul_f64 v[2:3], v[2:3], s[0:1]
	v_mad_u64_u32 v[0:1], s[6:7], s4, v36, v[0:1]
	v_cvt_f32_f64_e32 v8, v[8:9]
	v_cvt_f32_f64_e32 v9, v[2:3]
	v_add_u32_e32 v1, s2, v1
	global_store_dwordx2 v[0:1], v[8:9], off
	v_accvgpr_read_b32 v8, a34
	v_accvgpr_read_b32 v9, a35
	v_mul_f32_e32 v2, v9, v11
	v_fmac_f32_e32 v2, v8, v10
	v_cvt_f64_f32_e32 v[2:3], v2
	v_mul_f64 v[2:3], v[2:3], s[0:1]
	v_cvt_f32_f64_e32 v2, v[2:3]
	v_mul_f32_e32 v3, v9, v10
	v_fma_f32 v3, v8, v11, -v3
	v_cvt_f64_f32_e32 v[8:9], v3
	v_mul_f64 v[8:9], v[8:9], s[0:1]
	v_cvt_f32_f64_e32 v3, v[8:9]
	v_mad_u64_u32 v[0:1], s[6:7], s4, v36, v[0:1]
	v_accvgpr_read_b32 v8, a38
	v_add_u32_e32 v1, s2, v1
	v_accvgpr_read_b32 v9, a39
	global_store_dwordx2 v[0:1], v[2:3], off
	v_mul_f32_e32 v2, v9, v5
	v_fmac_f32_e32 v2, v8, v4
	v_cvt_f64_f32_e32 v[2:3], v2
	v_mul_f64 v[2:3], v[2:3], s[0:1]
	v_cvt_f32_f64_e32 v2, v[2:3]
	v_mul_f32_e32 v3, v9, v4
	v_fma_f32 v3, v8, v5, -v3
	v_cvt_f64_f32_e32 v[4:5], v3
	v_mul_f64 v[4:5], v[4:5], s[0:1]
	v_cvt_f32_f64_e32 v3, v[4:5]
	v_mad_u64_u32 v[0:1], s[6:7], s4, v36, v[0:1]
	v_accvgpr_read_b32 v4, a44
	v_add_u32_e32 v1, s2, v1
	v_accvgpr_read_b32 v5, a45
	global_store_dwordx2 v[0:1], v[2:3], off
	;; [unrolled: 15-line block ×5, first 2 shown]
	v_mul_f32_e32 v2, v5, v13
	v_fmac_f32_e32 v2, v4, v12
	v_cvt_f64_f32_e32 v[2:3], v2
	v_mul_f64 v[2:3], v[2:3], s[0:1]
	v_cvt_f32_f64_e32 v2, v[2:3]
	v_mul_f32_e32 v3, v5, v12
	v_fma_f32 v3, v4, v13, -v3
	v_cvt_f64_f32_e32 v[4:5], v3
	v_mul_f64 v[4:5], v[4:5], s[0:1]
	v_mad_u64_u32 v[0:1], s[0:1], s4, v36, v[0:1]
	v_cvt_f32_f64_e32 v3, v[4:5]
	v_add_u32_e32 v1, s2, v1
	global_store_dwordx2 v[0:1], v[2:3], off
.LBB0_10:
	s_endpgm
	.section	.rodata,"a",@progbits
	.p2align	6, 0x0
	.amdhsa_kernel bluestein_single_back_len480_dim1_sp_op_CI_CI
		.amdhsa_group_segment_fixed_size 15360
		.amdhsa_private_segment_fixed_size 0
		.amdhsa_kernarg_size 104
		.amdhsa_user_sgpr_count 2
		.amdhsa_user_sgpr_dispatch_ptr 0
		.amdhsa_user_sgpr_queue_ptr 0
		.amdhsa_user_sgpr_kernarg_segment_ptr 1
		.amdhsa_user_sgpr_dispatch_id 0
		.amdhsa_user_sgpr_kernarg_preload_length 0
		.amdhsa_user_sgpr_kernarg_preload_offset 0
		.amdhsa_user_sgpr_private_segment_size 0
		.amdhsa_uses_dynamic_stack 0
		.amdhsa_enable_private_segment 0
		.amdhsa_system_sgpr_workgroup_id_x 1
		.amdhsa_system_sgpr_workgroup_id_y 0
		.amdhsa_system_sgpr_workgroup_id_z 0
		.amdhsa_system_sgpr_workgroup_info 0
		.amdhsa_system_vgpr_workitem_id 0
		.amdhsa_next_free_vgpr 334
		.amdhsa_next_free_sgpr 22
		.amdhsa_accum_offset 256
		.amdhsa_reserve_vcc 1
		.amdhsa_float_round_mode_32 0
		.amdhsa_float_round_mode_16_64 0
		.amdhsa_float_denorm_mode_32 3
		.amdhsa_float_denorm_mode_16_64 3
		.amdhsa_dx10_clamp 1
		.amdhsa_ieee_mode 1
		.amdhsa_fp16_overflow 0
		.amdhsa_tg_split 0
		.amdhsa_exception_fp_ieee_invalid_op 0
		.amdhsa_exception_fp_denorm_src 0
		.amdhsa_exception_fp_ieee_div_zero 0
		.amdhsa_exception_fp_ieee_overflow 0
		.amdhsa_exception_fp_ieee_underflow 0
		.amdhsa_exception_fp_ieee_inexact 0
		.amdhsa_exception_int_div_zero 0
	.end_amdhsa_kernel
	.text
.Lfunc_end0:
	.size	bluestein_single_back_len480_dim1_sp_op_CI_CI, .Lfunc_end0-bluestein_single_back_len480_dim1_sp_op_CI_CI
                                        ; -- End function
	.section	.AMDGPU.csdata,"",@progbits
; Kernel info:
; codeLenInByte = 23332
; NumSgprs: 28
; NumVgprs: 256
; NumAgprs: 78
; TotalNumVgprs: 334
; ScratchSize: 0
; MemoryBound: 0
; FloatMode: 240
; IeeeMode: 1
; LDSByteSize: 15360 bytes/workgroup (compile time only)
; SGPRBlocks: 3
; VGPRBlocks: 41
; NumSGPRsForWavesPerEU: 28
; NumVGPRsForWavesPerEU: 334
; AccumOffset: 256
; Occupancy: 1
; WaveLimiterHint : 1
; COMPUTE_PGM_RSRC2:SCRATCH_EN: 0
; COMPUTE_PGM_RSRC2:USER_SGPR: 2
; COMPUTE_PGM_RSRC2:TRAP_HANDLER: 0
; COMPUTE_PGM_RSRC2:TGID_X_EN: 1
; COMPUTE_PGM_RSRC2:TGID_Y_EN: 0
; COMPUTE_PGM_RSRC2:TGID_Z_EN: 0
; COMPUTE_PGM_RSRC2:TIDIG_COMP_CNT: 0
; COMPUTE_PGM_RSRC3_GFX90A:ACCUM_OFFSET: 63
; COMPUTE_PGM_RSRC3_GFX90A:TG_SPLIT: 0
	.text
	.p2alignl 6, 3212836864
	.fill 256, 4, 3212836864
	.type	__hip_cuid_9b4c1c7a37ab309f,@object ; @__hip_cuid_9b4c1c7a37ab309f
	.section	.bss,"aw",@nobits
	.globl	__hip_cuid_9b4c1c7a37ab309f
__hip_cuid_9b4c1c7a37ab309f:
	.byte	0                               ; 0x0
	.size	__hip_cuid_9b4c1c7a37ab309f, 1

	.ident	"AMD clang version 19.0.0git (https://github.com/RadeonOpenCompute/llvm-project roc-6.4.0 25133 c7fe45cf4b819c5991fe208aaa96edf142730f1d)"
	.section	".note.GNU-stack","",@progbits
	.addrsig
	.addrsig_sym __hip_cuid_9b4c1c7a37ab309f
	.amdgpu_metadata
---
amdhsa.kernels:
  - .agpr_count:     78
    .args:
      - .actual_access:  read_only
        .address_space:  global
        .offset:         0
        .size:           8
        .value_kind:     global_buffer
      - .actual_access:  read_only
        .address_space:  global
        .offset:         8
        .size:           8
        .value_kind:     global_buffer
      - .actual_access:  read_only
        .address_space:  global
        .offset:         16
        .size:           8
        .value_kind:     global_buffer
      - .actual_access:  read_only
        .address_space:  global
        .offset:         24
        .size:           8
        .value_kind:     global_buffer
      - .actual_access:  read_only
        .address_space:  global
        .offset:         32
        .size:           8
        .value_kind:     global_buffer
      - .offset:         40
        .size:           8
        .value_kind:     by_value
      - .address_space:  global
        .offset:         48
        .size:           8
        .value_kind:     global_buffer
      - .address_space:  global
        .offset:         56
        .size:           8
        .value_kind:     global_buffer
      - .address_space:  global
        .offset:         64
        .size:           8
        .value_kind:     global_buffer
      - .address_space:  global
        .offset:         72
        .size:           8
        .value_kind:     global_buffer
      - .offset:         80
        .size:           4
        .value_kind:     by_value
      - .address_space:  global
        .offset:         88
        .size:           8
        .value_kind:     global_buffer
      - .address_space:  global
        .offset:         96
        .size:           8
        .value_kind:     global_buffer
    .group_segment_fixed_size: 15360
    .kernarg_segment_align: 8
    .kernarg_segment_size: 104
    .language:       OpenCL C
    .language_version:
      - 2
      - 0
    .max_flat_workgroup_size: 64
    .name:           bluestein_single_back_len480_dim1_sp_op_CI_CI
    .private_segment_fixed_size: 0
    .sgpr_count:     28
    .sgpr_spill_count: 0
    .symbol:         bluestein_single_back_len480_dim1_sp_op_CI_CI.kd
    .uniform_work_group_size: 1
    .uses_dynamic_stack: false
    .vgpr_count:     334
    .vgpr_spill_count: 0
    .wavefront_size: 64
amdhsa.target:   amdgcn-amd-amdhsa--gfx950
amdhsa.version:
  - 1
  - 2
...

	.end_amdgpu_metadata
